;; amdgpu-corpus repo=pytorch/pytorch kind=compiled arch=gfx906 opt=O3
	.amdgcn_target "amdgcn-amd-amdhsa--gfx906"
	.amdhsa_code_object_version 6
	.section	.text._ZN7rocprim17ROCPRIM_304000_NS6detail31init_lookback_scan_state_kernelINS1_19lookback_scan_stateIiLb1ELb1EEEEEvT_jjPNS5_10value_typeE,"axG",@progbits,_ZN7rocprim17ROCPRIM_304000_NS6detail31init_lookback_scan_state_kernelINS1_19lookback_scan_stateIiLb1ELb1EEEEEvT_jjPNS5_10value_typeE,comdat
	.protected	_ZN7rocprim17ROCPRIM_304000_NS6detail31init_lookback_scan_state_kernelINS1_19lookback_scan_stateIiLb1ELb1EEEEEvT_jjPNS5_10value_typeE ; -- Begin function _ZN7rocprim17ROCPRIM_304000_NS6detail31init_lookback_scan_state_kernelINS1_19lookback_scan_stateIiLb1ELb1EEEEEvT_jjPNS5_10value_typeE
	.globl	_ZN7rocprim17ROCPRIM_304000_NS6detail31init_lookback_scan_state_kernelINS1_19lookback_scan_stateIiLb1ELb1EEEEEvT_jjPNS5_10value_typeE
	.p2align	8
	.type	_ZN7rocprim17ROCPRIM_304000_NS6detail31init_lookback_scan_state_kernelINS1_19lookback_scan_stateIiLb1ELb1EEEEEvT_jjPNS5_10value_typeE,@function
_ZN7rocprim17ROCPRIM_304000_NS6detail31init_lookback_scan_state_kernelINS1_19lookback_scan_stateIiLb1ELb1EEEEEvT_jjPNS5_10value_typeE: ; @_ZN7rocprim17ROCPRIM_304000_NS6detail31init_lookback_scan_state_kernelINS1_19lookback_scan_stateIiLb1ELb1EEEEEvT_jjPNS5_10value_typeE
; %bb.0:
	s_load_dword s7, s[4:5], 0x24
	s_load_dwordx2 s[8:9], s[4:5], 0x10
	s_load_dwordx4 s[0:3], s[4:5], 0x0
	s_waitcnt lgkmcnt(0)
	s_and_b32 s4, s7, 0xffff
	s_mul_i32 s6, s6, s4
	s_cmp_eq_u64 s[8:9], 0
	v_add_u32_e32 v0, s6, v0
	s_cbranch_scc1 .LBB0_9
; %bb.1:
	s_cmp_lt_u32 s3, s2
	s_cselect_b32 s4, s3, 0
	s_mov_b32 s7, 0
	v_cmp_eq_u32_e32 vcc, s4, v0
	s_and_saveexec_b64 s[4:5], vcc
	s_cbranch_execz .LBB0_8
; %bb.2:
	s_add_i32 s6, s3, 64
	s_lshl_b64 s[6:7], s[6:7], 3
	s_add_u32 s6, s0, s6
	s_addc_u32 s7, s1, s7
	v_mov_b32_e32 v1, 0
	global_load_dwordx2 v[3:4], v1, s[6:7] glc
	s_waitcnt vmcnt(0)
	v_and_b32_e32 v2, 0xff, v4
	v_cmp_ne_u64_e32 vcc, 0, v[1:2]
	s_cbranch_vccnz .LBB0_7
; %bb.3:
	s_mov_b32 s3, 1
.LBB0_4:                                ; =>This Loop Header: Depth=1
                                        ;     Child Loop BB0_5 Depth 2
	s_mov_b32 s10, s3
.LBB0_5:                                ;   Parent Loop BB0_4 Depth=1
                                        ; =>  This Inner Loop Header: Depth=2
	s_add_i32 s10, s10, -1
	s_cmp_eq_u32 s10, 0
	s_sleep 1
	s_cbranch_scc0 .LBB0_5
; %bb.6:                                ;   in Loop: Header=BB0_4 Depth=1
	global_load_dwordx2 v[3:4], v1, s[6:7] glc
	s_cmp_lt_u32 s3, 32
	s_cselect_b64 s[10:11], -1, 0
	s_cmp_lg_u64 s[10:11], 0
	s_addc_u32 s3, s3, 0
	s_waitcnt vmcnt(0)
	v_and_b32_e32 v2, 0xff, v4
	v_cmp_ne_u64_e32 vcc, 0, v[1:2]
	s_cbranch_vccz .LBB0_4
.LBB0_7:
	v_mov_b32_e32 v1, 0
	global_store_dword v1, v3, s[8:9]
.LBB0_8:
	s_or_b64 exec, exec, s[4:5]
.LBB0_9:
	v_cmp_gt_u32_e32 vcc, s2, v0
	s_and_saveexec_b64 s[2:3], vcc
	s_cbranch_execnz .LBB0_12
; %bb.10:
	s_or_b64 exec, exec, s[2:3]
	v_cmp_gt_u32_e32 vcc, 64, v0
	s_and_saveexec_b64 s[2:3], vcc
	s_cbranch_execnz .LBB0_13
.LBB0_11:
	s_endpgm
.LBB0_12:
	v_add_u32_e32 v1, 64, v0
	v_mov_b32_e32 v2, 0
	v_lshlrev_b64 v[3:4], 3, v[1:2]
	v_mov_b32_e32 v1, s1
	v_add_co_u32_e32 v3, vcc, s0, v3
	v_addc_co_u32_e32 v4, vcc, v1, v4, vcc
	v_mov_b32_e32 v1, v2
	global_store_dwordx2 v[3:4], v[1:2], off
	s_or_b64 exec, exec, s[2:3]
	v_cmp_gt_u32_e32 vcc, 64, v0
	s_and_saveexec_b64 s[2:3], vcc
	s_cbranch_execz .LBB0_11
.LBB0_13:
	v_mov_b32_e32 v1, 0
	v_lshlrev_b64 v[2:3], 3, v[0:1]
	v_mov_b32_e32 v0, s1
	v_add_co_u32_e32 v2, vcc, s0, v2
	v_addc_co_u32_e32 v3, vcc, v0, v3, vcc
	v_mov_b32_e32 v5, 0xff
	v_mov_b32_e32 v4, v1
	global_store_dwordx2 v[2:3], v[4:5], off
	s_endpgm
	.section	.rodata,"a",@progbits
	.p2align	6, 0x0
	.amdhsa_kernel _ZN7rocprim17ROCPRIM_304000_NS6detail31init_lookback_scan_state_kernelINS1_19lookback_scan_stateIiLb1ELb1EEEEEvT_jjPNS5_10value_typeE
		.amdhsa_group_segment_fixed_size 0
		.amdhsa_private_segment_fixed_size 0
		.amdhsa_kernarg_size 280
		.amdhsa_user_sgpr_count 6
		.amdhsa_user_sgpr_private_segment_buffer 1
		.amdhsa_user_sgpr_dispatch_ptr 0
		.amdhsa_user_sgpr_queue_ptr 0
		.amdhsa_user_sgpr_kernarg_segment_ptr 1
		.amdhsa_user_sgpr_dispatch_id 0
		.amdhsa_user_sgpr_flat_scratch_init 0
		.amdhsa_user_sgpr_private_segment_size 0
		.amdhsa_uses_dynamic_stack 0
		.amdhsa_system_sgpr_private_segment_wavefront_offset 0
		.amdhsa_system_sgpr_workgroup_id_x 1
		.amdhsa_system_sgpr_workgroup_id_y 0
		.amdhsa_system_sgpr_workgroup_id_z 0
		.amdhsa_system_sgpr_workgroup_info 0
		.amdhsa_system_vgpr_workitem_id 0
		.amdhsa_next_free_vgpr 6
		.amdhsa_next_free_sgpr 12
		.amdhsa_reserve_vcc 1
		.amdhsa_reserve_flat_scratch 0
		.amdhsa_float_round_mode_32 0
		.amdhsa_float_round_mode_16_64 0
		.amdhsa_float_denorm_mode_32 3
		.amdhsa_float_denorm_mode_16_64 3
		.amdhsa_dx10_clamp 1
		.amdhsa_ieee_mode 1
		.amdhsa_fp16_overflow 0
		.amdhsa_exception_fp_ieee_invalid_op 0
		.amdhsa_exception_fp_denorm_src 0
		.amdhsa_exception_fp_ieee_div_zero 0
		.amdhsa_exception_fp_ieee_overflow 0
		.amdhsa_exception_fp_ieee_underflow 0
		.amdhsa_exception_fp_ieee_inexact 0
		.amdhsa_exception_int_div_zero 0
	.end_amdhsa_kernel
	.section	.text._ZN7rocprim17ROCPRIM_304000_NS6detail31init_lookback_scan_state_kernelINS1_19lookback_scan_stateIiLb1ELb1EEEEEvT_jjPNS5_10value_typeE,"axG",@progbits,_ZN7rocprim17ROCPRIM_304000_NS6detail31init_lookback_scan_state_kernelINS1_19lookback_scan_stateIiLb1ELb1EEEEEvT_jjPNS5_10value_typeE,comdat
.Lfunc_end0:
	.size	_ZN7rocprim17ROCPRIM_304000_NS6detail31init_lookback_scan_state_kernelINS1_19lookback_scan_stateIiLb1ELb1EEEEEvT_jjPNS5_10value_typeE, .Lfunc_end0-_ZN7rocprim17ROCPRIM_304000_NS6detail31init_lookback_scan_state_kernelINS1_19lookback_scan_stateIiLb1ELb1EEEEEvT_jjPNS5_10value_typeE
                                        ; -- End function
	.set _ZN7rocprim17ROCPRIM_304000_NS6detail31init_lookback_scan_state_kernelINS1_19lookback_scan_stateIiLb1ELb1EEEEEvT_jjPNS5_10value_typeE.num_vgpr, 6
	.set _ZN7rocprim17ROCPRIM_304000_NS6detail31init_lookback_scan_state_kernelINS1_19lookback_scan_stateIiLb1ELb1EEEEEvT_jjPNS5_10value_typeE.num_agpr, 0
	.set _ZN7rocprim17ROCPRIM_304000_NS6detail31init_lookback_scan_state_kernelINS1_19lookback_scan_stateIiLb1ELb1EEEEEvT_jjPNS5_10value_typeE.numbered_sgpr, 12
	.set _ZN7rocprim17ROCPRIM_304000_NS6detail31init_lookback_scan_state_kernelINS1_19lookback_scan_stateIiLb1ELb1EEEEEvT_jjPNS5_10value_typeE.num_named_barrier, 0
	.set _ZN7rocprim17ROCPRIM_304000_NS6detail31init_lookback_scan_state_kernelINS1_19lookback_scan_stateIiLb1ELb1EEEEEvT_jjPNS5_10value_typeE.private_seg_size, 0
	.set _ZN7rocprim17ROCPRIM_304000_NS6detail31init_lookback_scan_state_kernelINS1_19lookback_scan_stateIiLb1ELb1EEEEEvT_jjPNS5_10value_typeE.uses_vcc, 1
	.set _ZN7rocprim17ROCPRIM_304000_NS6detail31init_lookback_scan_state_kernelINS1_19lookback_scan_stateIiLb1ELb1EEEEEvT_jjPNS5_10value_typeE.uses_flat_scratch, 0
	.set _ZN7rocprim17ROCPRIM_304000_NS6detail31init_lookback_scan_state_kernelINS1_19lookback_scan_stateIiLb1ELb1EEEEEvT_jjPNS5_10value_typeE.has_dyn_sized_stack, 0
	.set _ZN7rocprim17ROCPRIM_304000_NS6detail31init_lookback_scan_state_kernelINS1_19lookback_scan_stateIiLb1ELb1EEEEEvT_jjPNS5_10value_typeE.has_recursion, 0
	.set _ZN7rocprim17ROCPRIM_304000_NS6detail31init_lookback_scan_state_kernelINS1_19lookback_scan_stateIiLb1ELb1EEEEEvT_jjPNS5_10value_typeE.has_indirect_call, 0
	.section	.AMDGPU.csdata,"",@progbits
; Kernel info:
; codeLenInByte = 344
; TotalNumSgprs: 16
; NumVgprs: 6
; ScratchSize: 0
; MemoryBound: 0
; FloatMode: 240
; IeeeMode: 1
; LDSByteSize: 0 bytes/workgroup (compile time only)
; SGPRBlocks: 1
; VGPRBlocks: 1
; NumSGPRsForWavesPerEU: 16
; NumVGPRsForWavesPerEU: 6
; Occupancy: 10
; WaveLimiterHint : 0
; COMPUTE_PGM_RSRC2:SCRATCH_EN: 0
; COMPUTE_PGM_RSRC2:USER_SGPR: 6
; COMPUTE_PGM_RSRC2:TRAP_HANDLER: 0
; COMPUTE_PGM_RSRC2:TGID_X_EN: 1
; COMPUTE_PGM_RSRC2:TGID_Y_EN: 0
; COMPUTE_PGM_RSRC2:TGID_Z_EN: 0
; COMPUTE_PGM_RSRC2:TIDIG_COMP_CNT: 0
	.section	.text._ZN7rocprim17ROCPRIM_304000_NS6detail31init_lookback_scan_state_kernelINS1_19lookback_scan_stateIiLb0ELb1EEEEEvT_jjPNS5_10value_typeE,"axG",@progbits,_ZN7rocprim17ROCPRIM_304000_NS6detail31init_lookback_scan_state_kernelINS1_19lookback_scan_stateIiLb0ELb1EEEEEvT_jjPNS5_10value_typeE,comdat
	.protected	_ZN7rocprim17ROCPRIM_304000_NS6detail31init_lookback_scan_state_kernelINS1_19lookback_scan_stateIiLb0ELb1EEEEEvT_jjPNS5_10value_typeE ; -- Begin function _ZN7rocprim17ROCPRIM_304000_NS6detail31init_lookback_scan_state_kernelINS1_19lookback_scan_stateIiLb0ELb1EEEEEvT_jjPNS5_10value_typeE
	.globl	_ZN7rocprim17ROCPRIM_304000_NS6detail31init_lookback_scan_state_kernelINS1_19lookback_scan_stateIiLb0ELb1EEEEEvT_jjPNS5_10value_typeE
	.p2align	8
	.type	_ZN7rocprim17ROCPRIM_304000_NS6detail31init_lookback_scan_state_kernelINS1_19lookback_scan_stateIiLb0ELb1EEEEEvT_jjPNS5_10value_typeE,@function
_ZN7rocprim17ROCPRIM_304000_NS6detail31init_lookback_scan_state_kernelINS1_19lookback_scan_stateIiLb0ELb1EEEEEvT_jjPNS5_10value_typeE: ; @_ZN7rocprim17ROCPRIM_304000_NS6detail31init_lookback_scan_state_kernelINS1_19lookback_scan_stateIiLb0ELb1EEEEEvT_jjPNS5_10value_typeE
; %bb.0:
	s_load_dword s7, s[4:5], 0x24
	s_load_dwordx2 s[8:9], s[4:5], 0x10
	s_load_dwordx4 s[0:3], s[4:5], 0x0
	s_waitcnt lgkmcnt(0)
	s_and_b32 s4, s7, 0xffff
	s_mul_i32 s6, s6, s4
	s_cmp_eq_u64 s[8:9], 0
	v_add_u32_e32 v0, s6, v0
	s_cbranch_scc1 .LBB1_6
; %bb.1:
	s_cmp_lt_u32 s3, s2
	s_cselect_b32 s4, s3, 0
	s_mov_b32 s7, 0
	v_cmp_eq_u32_e32 vcc, s4, v0
	s_and_saveexec_b64 s[4:5], vcc
	s_cbranch_execz .LBB1_5
; %bb.2:
	s_add_i32 s6, s3, 64
	s_lshl_b64 s[6:7], s[6:7], 3
	s_add_u32 s6, s0, s6
	s_addc_u32 s7, s1, s7
	v_mov_b32_e32 v3, 0
	global_load_dwordx2 v[1:2], v3, s[6:7] glc
	s_waitcnt vmcnt(0)
	v_and_b32_e32 v4, 0xff, v2
	v_cmp_ne_u64_e32 vcc, 0, v[3:4]
	s_cbranch_vccnz .LBB1_4
.LBB1_3:                                ; =>This Inner Loop Header: Depth=1
	global_load_dwordx2 v[1:2], v3, s[6:7] glc
	s_waitcnt vmcnt(0)
	v_and_b32_e32 v4, 0xff, v2
	v_cmp_eq_u64_e32 vcc, 0, v[3:4]
	s_cbranch_vccnz .LBB1_3
.LBB1_4:
	v_mov_b32_e32 v2, 0
	global_store_dword v2, v1, s[8:9]
.LBB1_5:
	s_or_b64 exec, exec, s[4:5]
.LBB1_6:
	v_cmp_gt_u32_e32 vcc, s2, v0
	s_and_saveexec_b64 s[2:3], vcc
	s_cbranch_execnz .LBB1_9
; %bb.7:
	s_or_b64 exec, exec, s[2:3]
	v_cmp_gt_u32_e32 vcc, 64, v0
	s_and_saveexec_b64 s[2:3], vcc
	s_cbranch_execnz .LBB1_10
.LBB1_8:
	s_endpgm
.LBB1_9:
	v_add_u32_e32 v1, 64, v0
	v_mov_b32_e32 v2, 0
	v_lshlrev_b64 v[3:4], 3, v[1:2]
	v_mov_b32_e32 v1, s1
	v_add_co_u32_e32 v3, vcc, s0, v3
	v_addc_co_u32_e32 v4, vcc, v1, v4, vcc
	v_mov_b32_e32 v1, v2
	global_store_dwordx2 v[3:4], v[1:2], off
	s_or_b64 exec, exec, s[2:3]
	v_cmp_gt_u32_e32 vcc, 64, v0
	s_and_saveexec_b64 s[2:3], vcc
	s_cbranch_execz .LBB1_8
.LBB1_10:
	v_mov_b32_e32 v1, 0
	v_lshlrev_b64 v[2:3], 3, v[0:1]
	v_mov_b32_e32 v0, s1
	v_add_co_u32_e32 v2, vcc, s0, v2
	v_addc_co_u32_e32 v3, vcc, v0, v3, vcc
	v_mov_b32_e32 v5, 0xff
	v_mov_b32_e32 v4, v1
	global_store_dwordx2 v[2:3], v[4:5], off
	s_endpgm
	.section	.rodata,"a",@progbits
	.p2align	6, 0x0
	.amdhsa_kernel _ZN7rocprim17ROCPRIM_304000_NS6detail31init_lookback_scan_state_kernelINS1_19lookback_scan_stateIiLb0ELb1EEEEEvT_jjPNS5_10value_typeE
		.amdhsa_group_segment_fixed_size 0
		.amdhsa_private_segment_fixed_size 0
		.amdhsa_kernarg_size 280
		.amdhsa_user_sgpr_count 6
		.amdhsa_user_sgpr_private_segment_buffer 1
		.amdhsa_user_sgpr_dispatch_ptr 0
		.amdhsa_user_sgpr_queue_ptr 0
		.amdhsa_user_sgpr_kernarg_segment_ptr 1
		.amdhsa_user_sgpr_dispatch_id 0
		.amdhsa_user_sgpr_flat_scratch_init 0
		.amdhsa_user_sgpr_private_segment_size 0
		.amdhsa_uses_dynamic_stack 0
		.amdhsa_system_sgpr_private_segment_wavefront_offset 0
		.amdhsa_system_sgpr_workgroup_id_x 1
		.amdhsa_system_sgpr_workgroup_id_y 0
		.amdhsa_system_sgpr_workgroup_id_z 0
		.amdhsa_system_sgpr_workgroup_info 0
		.amdhsa_system_vgpr_workitem_id 0
		.amdhsa_next_free_vgpr 6
		.amdhsa_next_free_sgpr 10
		.amdhsa_reserve_vcc 1
		.amdhsa_reserve_flat_scratch 0
		.amdhsa_float_round_mode_32 0
		.amdhsa_float_round_mode_16_64 0
		.amdhsa_float_denorm_mode_32 3
		.amdhsa_float_denorm_mode_16_64 3
		.amdhsa_dx10_clamp 1
		.amdhsa_ieee_mode 1
		.amdhsa_fp16_overflow 0
		.amdhsa_exception_fp_ieee_invalid_op 0
		.amdhsa_exception_fp_denorm_src 0
		.amdhsa_exception_fp_ieee_div_zero 0
		.amdhsa_exception_fp_ieee_overflow 0
		.amdhsa_exception_fp_ieee_underflow 0
		.amdhsa_exception_fp_ieee_inexact 0
		.amdhsa_exception_int_div_zero 0
	.end_amdhsa_kernel
	.section	.text._ZN7rocprim17ROCPRIM_304000_NS6detail31init_lookback_scan_state_kernelINS1_19lookback_scan_stateIiLb0ELb1EEEEEvT_jjPNS5_10value_typeE,"axG",@progbits,_ZN7rocprim17ROCPRIM_304000_NS6detail31init_lookback_scan_state_kernelINS1_19lookback_scan_stateIiLb0ELb1EEEEEvT_jjPNS5_10value_typeE,comdat
.Lfunc_end1:
	.size	_ZN7rocprim17ROCPRIM_304000_NS6detail31init_lookback_scan_state_kernelINS1_19lookback_scan_stateIiLb0ELb1EEEEEvT_jjPNS5_10value_typeE, .Lfunc_end1-_ZN7rocprim17ROCPRIM_304000_NS6detail31init_lookback_scan_state_kernelINS1_19lookback_scan_stateIiLb0ELb1EEEEEvT_jjPNS5_10value_typeE
                                        ; -- End function
	.set _ZN7rocprim17ROCPRIM_304000_NS6detail31init_lookback_scan_state_kernelINS1_19lookback_scan_stateIiLb0ELb1EEEEEvT_jjPNS5_10value_typeE.num_vgpr, 6
	.set _ZN7rocprim17ROCPRIM_304000_NS6detail31init_lookback_scan_state_kernelINS1_19lookback_scan_stateIiLb0ELb1EEEEEvT_jjPNS5_10value_typeE.num_agpr, 0
	.set _ZN7rocprim17ROCPRIM_304000_NS6detail31init_lookback_scan_state_kernelINS1_19lookback_scan_stateIiLb0ELb1EEEEEvT_jjPNS5_10value_typeE.numbered_sgpr, 10
	.set _ZN7rocprim17ROCPRIM_304000_NS6detail31init_lookback_scan_state_kernelINS1_19lookback_scan_stateIiLb0ELb1EEEEEvT_jjPNS5_10value_typeE.num_named_barrier, 0
	.set _ZN7rocprim17ROCPRIM_304000_NS6detail31init_lookback_scan_state_kernelINS1_19lookback_scan_stateIiLb0ELb1EEEEEvT_jjPNS5_10value_typeE.private_seg_size, 0
	.set _ZN7rocprim17ROCPRIM_304000_NS6detail31init_lookback_scan_state_kernelINS1_19lookback_scan_stateIiLb0ELb1EEEEEvT_jjPNS5_10value_typeE.uses_vcc, 1
	.set _ZN7rocprim17ROCPRIM_304000_NS6detail31init_lookback_scan_state_kernelINS1_19lookback_scan_stateIiLb0ELb1EEEEEvT_jjPNS5_10value_typeE.uses_flat_scratch, 0
	.set _ZN7rocprim17ROCPRIM_304000_NS6detail31init_lookback_scan_state_kernelINS1_19lookback_scan_stateIiLb0ELb1EEEEEvT_jjPNS5_10value_typeE.has_dyn_sized_stack, 0
	.set _ZN7rocprim17ROCPRIM_304000_NS6detail31init_lookback_scan_state_kernelINS1_19lookback_scan_stateIiLb0ELb1EEEEEvT_jjPNS5_10value_typeE.has_recursion, 0
	.set _ZN7rocprim17ROCPRIM_304000_NS6detail31init_lookback_scan_state_kernelINS1_19lookback_scan_stateIiLb0ELb1EEEEEvT_jjPNS5_10value_typeE.has_indirect_call, 0
	.section	.AMDGPU.csdata,"",@progbits
; Kernel info:
; codeLenInByte = 304
; TotalNumSgprs: 14
; NumVgprs: 6
; ScratchSize: 0
; MemoryBound: 0
; FloatMode: 240
; IeeeMode: 1
; LDSByteSize: 0 bytes/workgroup (compile time only)
; SGPRBlocks: 1
; VGPRBlocks: 1
; NumSGPRsForWavesPerEU: 14
; NumVGPRsForWavesPerEU: 6
; Occupancy: 10
; WaveLimiterHint : 0
; COMPUTE_PGM_RSRC2:SCRATCH_EN: 0
; COMPUTE_PGM_RSRC2:USER_SGPR: 6
; COMPUTE_PGM_RSRC2:TRAP_HANDLER: 0
; COMPUTE_PGM_RSRC2:TGID_X_EN: 1
; COMPUTE_PGM_RSRC2:TGID_Y_EN: 0
; COMPUTE_PGM_RSRC2:TGID_Z_EN: 0
; COMPUTE_PGM_RSRC2:TIDIG_COMP_CNT: 0
	.section	.text._ZN7rocprim17ROCPRIM_304000_NS6detail20lookback_scan_kernelILNS1_25lookback_scan_determinismE0ELb0ENS1_19wrapped_scan_configINS0_14default_configEiEEPKiPiSt4plusIvEiiNS1_19lookback_scan_stateIiLb1ELb1EEEEEvT2_T3_mT5_T4_T7_jPT6_SK_bb,"axG",@progbits,_ZN7rocprim17ROCPRIM_304000_NS6detail20lookback_scan_kernelILNS1_25lookback_scan_determinismE0ELb0ENS1_19wrapped_scan_configINS0_14default_configEiEEPKiPiSt4plusIvEiiNS1_19lookback_scan_stateIiLb1ELb1EEEEEvT2_T3_mT5_T4_T7_jPT6_SK_bb,comdat
	.protected	_ZN7rocprim17ROCPRIM_304000_NS6detail20lookback_scan_kernelILNS1_25lookback_scan_determinismE0ELb0ENS1_19wrapped_scan_configINS0_14default_configEiEEPKiPiSt4plusIvEiiNS1_19lookback_scan_stateIiLb1ELb1EEEEEvT2_T3_mT5_T4_T7_jPT6_SK_bb ; -- Begin function _ZN7rocprim17ROCPRIM_304000_NS6detail20lookback_scan_kernelILNS1_25lookback_scan_determinismE0ELb0ENS1_19wrapped_scan_configINS0_14default_configEiEEPKiPiSt4plusIvEiiNS1_19lookback_scan_stateIiLb1ELb1EEEEEvT2_T3_mT5_T4_T7_jPT6_SK_bb
	.globl	_ZN7rocprim17ROCPRIM_304000_NS6detail20lookback_scan_kernelILNS1_25lookback_scan_determinismE0ELb0ENS1_19wrapped_scan_configINS0_14default_configEiEEPKiPiSt4plusIvEiiNS1_19lookback_scan_stateIiLb1ELb1EEEEEvT2_T3_mT5_T4_T7_jPT6_SK_bb
	.p2align	8
	.type	_ZN7rocprim17ROCPRIM_304000_NS6detail20lookback_scan_kernelILNS1_25lookback_scan_determinismE0ELb0ENS1_19wrapped_scan_configINS0_14default_configEiEEPKiPiSt4plusIvEiiNS1_19lookback_scan_stateIiLb1ELb1EEEEEvT2_T3_mT5_T4_T7_jPT6_SK_bb,@function
_ZN7rocprim17ROCPRIM_304000_NS6detail20lookback_scan_kernelILNS1_25lookback_scan_determinismE0ELb0ENS1_19wrapped_scan_configINS0_14default_configEiEEPKiPiSt4plusIvEiiNS1_19lookback_scan_stateIiLb1ELb1EEEEEvT2_T3_mT5_T4_T7_jPT6_SK_bb: ; @_ZN7rocprim17ROCPRIM_304000_NS6detail20lookback_scan_kernelILNS1_25lookback_scan_determinismE0ELb0ENS1_19wrapped_scan_configINS0_14default_configEiEEPKiPiSt4plusIvEiiNS1_19lookback_scan_stateIiLb1ELb1EEEEEvT2_T3_mT5_T4_T7_jPT6_SK_bb
; %bb.0:
	s_endpgm
	.section	.rodata,"a",@progbits
	.p2align	6, 0x0
	.amdhsa_kernel _ZN7rocprim17ROCPRIM_304000_NS6detail20lookback_scan_kernelILNS1_25lookback_scan_determinismE0ELb0ENS1_19wrapped_scan_configINS0_14default_configEiEEPKiPiSt4plusIvEiiNS1_19lookback_scan_stateIiLb1ELb1EEEEEvT2_T3_mT5_T4_T7_jPT6_SK_bb
		.amdhsa_group_segment_fixed_size 0
		.amdhsa_private_segment_fixed_size 0
		.amdhsa_kernarg_size 68
		.amdhsa_user_sgpr_count 6
		.amdhsa_user_sgpr_private_segment_buffer 1
		.amdhsa_user_sgpr_dispatch_ptr 0
		.amdhsa_user_sgpr_queue_ptr 0
		.amdhsa_user_sgpr_kernarg_segment_ptr 1
		.amdhsa_user_sgpr_dispatch_id 0
		.amdhsa_user_sgpr_flat_scratch_init 0
		.amdhsa_user_sgpr_private_segment_size 0
		.amdhsa_uses_dynamic_stack 0
		.amdhsa_system_sgpr_private_segment_wavefront_offset 0
		.amdhsa_system_sgpr_workgroup_id_x 1
		.amdhsa_system_sgpr_workgroup_id_y 0
		.amdhsa_system_sgpr_workgroup_id_z 0
		.amdhsa_system_sgpr_workgroup_info 0
		.amdhsa_system_vgpr_workitem_id 0
		.amdhsa_next_free_vgpr 1
		.amdhsa_next_free_sgpr 0
		.amdhsa_reserve_vcc 0
		.amdhsa_reserve_flat_scratch 0
		.amdhsa_float_round_mode_32 0
		.amdhsa_float_round_mode_16_64 0
		.amdhsa_float_denorm_mode_32 3
		.amdhsa_float_denorm_mode_16_64 3
		.amdhsa_dx10_clamp 1
		.amdhsa_ieee_mode 1
		.amdhsa_fp16_overflow 0
		.amdhsa_exception_fp_ieee_invalid_op 0
		.amdhsa_exception_fp_denorm_src 0
		.amdhsa_exception_fp_ieee_div_zero 0
		.amdhsa_exception_fp_ieee_overflow 0
		.amdhsa_exception_fp_ieee_underflow 0
		.amdhsa_exception_fp_ieee_inexact 0
		.amdhsa_exception_int_div_zero 0
	.end_amdhsa_kernel
	.section	.text._ZN7rocprim17ROCPRIM_304000_NS6detail20lookback_scan_kernelILNS1_25lookback_scan_determinismE0ELb0ENS1_19wrapped_scan_configINS0_14default_configEiEEPKiPiSt4plusIvEiiNS1_19lookback_scan_stateIiLb1ELb1EEEEEvT2_T3_mT5_T4_T7_jPT6_SK_bb,"axG",@progbits,_ZN7rocprim17ROCPRIM_304000_NS6detail20lookback_scan_kernelILNS1_25lookback_scan_determinismE0ELb0ENS1_19wrapped_scan_configINS0_14default_configEiEEPKiPiSt4plusIvEiiNS1_19lookback_scan_stateIiLb1ELb1EEEEEvT2_T3_mT5_T4_T7_jPT6_SK_bb,comdat
.Lfunc_end2:
	.size	_ZN7rocprim17ROCPRIM_304000_NS6detail20lookback_scan_kernelILNS1_25lookback_scan_determinismE0ELb0ENS1_19wrapped_scan_configINS0_14default_configEiEEPKiPiSt4plusIvEiiNS1_19lookback_scan_stateIiLb1ELb1EEEEEvT2_T3_mT5_T4_T7_jPT6_SK_bb, .Lfunc_end2-_ZN7rocprim17ROCPRIM_304000_NS6detail20lookback_scan_kernelILNS1_25lookback_scan_determinismE0ELb0ENS1_19wrapped_scan_configINS0_14default_configEiEEPKiPiSt4plusIvEiiNS1_19lookback_scan_stateIiLb1ELb1EEEEEvT2_T3_mT5_T4_T7_jPT6_SK_bb
                                        ; -- End function
	.set _ZN7rocprim17ROCPRIM_304000_NS6detail20lookback_scan_kernelILNS1_25lookback_scan_determinismE0ELb0ENS1_19wrapped_scan_configINS0_14default_configEiEEPKiPiSt4plusIvEiiNS1_19lookback_scan_stateIiLb1ELb1EEEEEvT2_T3_mT5_T4_T7_jPT6_SK_bb.num_vgpr, 0
	.set _ZN7rocprim17ROCPRIM_304000_NS6detail20lookback_scan_kernelILNS1_25lookback_scan_determinismE0ELb0ENS1_19wrapped_scan_configINS0_14default_configEiEEPKiPiSt4plusIvEiiNS1_19lookback_scan_stateIiLb1ELb1EEEEEvT2_T3_mT5_T4_T7_jPT6_SK_bb.num_agpr, 0
	.set _ZN7rocprim17ROCPRIM_304000_NS6detail20lookback_scan_kernelILNS1_25lookback_scan_determinismE0ELb0ENS1_19wrapped_scan_configINS0_14default_configEiEEPKiPiSt4plusIvEiiNS1_19lookback_scan_stateIiLb1ELb1EEEEEvT2_T3_mT5_T4_T7_jPT6_SK_bb.numbered_sgpr, 0
	.set _ZN7rocprim17ROCPRIM_304000_NS6detail20lookback_scan_kernelILNS1_25lookback_scan_determinismE0ELb0ENS1_19wrapped_scan_configINS0_14default_configEiEEPKiPiSt4plusIvEiiNS1_19lookback_scan_stateIiLb1ELb1EEEEEvT2_T3_mT5_T4_T7_jPT6_SK_bb.num_named_barrier, 0
	.set _ZN7rocprim17ROCPRIM_304000_NS6detail20lookback_scan_kernelILNS1_25lookback_scan_determinismE0ELb0ENS1_19wrapped_scan_configINS0_14default_configEiEEPKiPiSt4plusIvEiiNS1_19lookback_scan_stateIiLb1ELb1EEEEEvT2_T3_mT5_T4_T7_jPT6_SK_bb.private_seg_size, 0
	.set _ZN7rocprim17ROCPRIM_304000_NS6detail20lookback_scan_kernelILNS1_25lookback_scan_determinismE0ELb0ENS1_19wrapped_scan_configINS0_14default_configEiEEPKiPiSt4plusIvEiiNS1_19lookback_scan_stateIiLb1ELb1EEEEEvT2_T3_mT5_T4_T7_jPT6_SK_bb.uses_vcc, 0
	.set _ZN7rocprim17ROCPRIM_304000_NS6detail20lookback_scan_kernelILNS1_25lookback_scan_determinismE0ELb0ENS1_19wrapped_scan_configINS0_14default_configEiEEPKiPiSt4plusIvEiiNS1_19lookback_scan_stateIiLb1ELb1EEEEEvT2_T3_mT5_T4_T7_jPT6_SK_bb.uses_flat_scratch, 0
	.set _ZN7rocprim17ROCPRIM_304000_NS6detail20lookback_scan_kernelILNS1_25lookback_scan_determinismE0ELb0ENS1_19wrapped_scan_configINS0_14default_configEiEEPKiPiSt4plusIvEiiNS1_19lookback_scan_stateIiLb1ELb1EEEEEvT2_T3_mT5_T4_T7_jPT6_SK_bb.has_dyn_sized_stack, 0
	.set _ZN7rocprim17ROCPRIM_304000_NS6detail20lookback_scan_kernelILNS1_25lookback_scan_determinismE0ELb0ENS1_19wrapped_scan_configINS0_14default_configEiEEPKiPiSt4plusIvEiiNS1_19lookback_scan_stateIiLb1ELb1EEEEEvT2_T3_mT5_T4_T7_jPT6_SK_bb.has_recursion, 0
	.set _ZN7rocprim17ROCPRIM_304000_NS6detail20lookback_scan_kernelILNS1_25lookback_scan_determinismE0ELb0ENS1_19wrapped_scan_configINS0_14default_configEiEEPKiPiSt4plusIvEiiNS1_19lookback_scan_stateIiLb1ELb1EEEEEvT2_T3_mT5_T4_T7_jPT6_SK_bb.has_indirect_call, 0
	.section	.AMDGPU.csdata,"",@progbits
; Kernel info:
; codeLenInByte = 4
; TotalNumSgprs: 4
; NumVgprs: 0
; ScratchSize: 0
; MemoryBound: 0
; FloatMode: 240
; IeeeMode: 1
; LDSByteSize: 0 bytes/workgroup (compile time only)
; SGPRBlocks: 0
; VGPRBlocks: 0
; NumSGPRsForWavesPerEU: 4
; NumVGPRsForWavesPerEU: 1
; Occupancy: 10
; WaveLimiterHint : 0
; COMPUTE_PGM_RSRC2:SCRATCH_EN: 0
; COMPUTE_PGM_RSRC2:USER_SGPR: 6
; COMPUTE_PGM_RSRC2:TRAP_HANDLER: 0
; COMPUTE_PGM_RSRC2:TGID_X_EN: 1
; COMPUTE_PGM_RSRC2:TGID_Y_EN: 0
; COMPUTE_PGM_RSRC2:TGID_Z_EN: 0
; COMPUTE_PGM_RSRC2:TIDIG_COMP_CNT: 0
	.section	.text._ZN7rocprim17ROCPRIM_304000_NS6detail20lookback_scan_kernelILNS1_25lookback_scan_determinismE0ELb0ENS1_19wrapped_scan_configINS0_14default_configEiEEPKiPiSt4plusIvEiiNS1_19lookback_scan_stateIiLb0ELb1EEEEEvT2_T3_mT5_T4_T7_jPT6_SK_bb,"axG",@progbits,_ZN7rocprim17ROCPRIM_304000_NS6detail20lookback_scan_kernelILNS1_25lookback_scan_determinismE0ELb0ENS1_19wrapped_scan_configINS0_14default_configEiEEPKiPiSt4plusIvEiiNS1_19lookback_scan_stateIiLb0ELb1EEEEEvT2_T3_mT5_T4_T7_jPT6_SK_bb,comdat
	.protected	_ZN7rocprim17ROCPRIM_304000_NS6detail20lookback_scan_kernelILNS1_25lookback_scan_determinismE0ELb0ENS1_19wrapped_scan_configINS0_14default_configEiEEPKiPiSt4plusIvEiiNS1_19lookback_scan_stateIiLb0ELb1EEEEEvT2_T3_mT5_T4_T7_jPT6_SK_bb ; -- Begin function _ZN7rocprim17ROCPRIM_304000_NS6detail20lookback_scan_kernelILNS1_25lookback_scan_determinismE0ELb0ENS1_19wrapped_scan_configINS0_14default_configEiEEPKiPiSt4plusIvEiiNS1_19lookback_scan_stateIiLb0ELb1EEEEEvT2_T3_mT5_T4_T7_jPT6_SK_bb
	.globl	_ZN7rocprim17ROCPRIM_304000_NS6detail20lookback_scan_kernelILNS1_25lookback_scan_determinismE0ELb0ENS1_19wrapped_scan_configINS0_14default_configEiEEPKiPiSt4plusIvEiiNS1_19lookback_scan_stateIiLb0ELb1EEEEEvT2_T3_mT5_T4_T7_jPT6_SK_bb
	.p2align	8
	.type	_ZN7rocprim17ROCPRIM_304000_NS6detail20lookback_scan_kernelILNS1_25lookback_scan_determinismE0ELb0ENS1_19wrapped_scan_configINS0_14default_configEiEEPKiPiSt4plusIvEiiNS1_19lookback_scan_stateIiLb0ELb1EEEEEvT2_T3_mT5_T4_T7_jPT6_SK_bb,@function
_ZN7rocprim17ROCPRIM_304000_NS6detail20lookback_scan_kernelILNS1_25lookback_scan_determinismE0ELb0ENS1_19wrapped_scan_configINS0_14default_configEiEEPKiPiSt4plusIvEiiNS1_19lookback_scan_stateIiLb0ELb1EEEEEvT2_T3_mT5_T4_T7_jPT6_SK_bb: ; @_ZN7rocprim17ROCPRIM_304000_NS6detail20lookback_scan_kernelILNS1_25lookback_scan_determinismE0ELb0ENS1_19wrapped_scan_configINS0_14default_configEiEEPKiPiSt4plusIvEiiNS1_19lookback_scan_stateIiLb0ELb1EEEEEvT2_T3_mT5_T4_T7_jPT6_SK_bb
; %bb.0:
	s_load_dword s3, s[4:5], 0x28
	s_load_dwordx4 s[24:27], s[4:5], 0x0
	s_load_dwordx2 s[0:1], s[4:5], 0x10
	s_mul_i32 s2, s6, 0xf00
	v_lshlrev_b32_e32 v31, 2, v0
	s_waitcnt lgkmcnt(0)
	s_add_i32 s7, s3, -1
	s_mul_i32 s8, s7, 0xf00
	s_sub_u32 s23, s0, s8
	s_subb_u32 s33, s1, 0
	s_mov_b32 s3, 0
	s_cmp_lg_u32 s6, s7
	s_cselect_b64 s[28:29], -1, 0
	s_lshl_b64 s[30:31], s[2:3], 2
	s_add_u32 s2, s24, s30
	s_addc_u32 s3, s25, s31
	s_mov_b64 s[0:1], -1
	s_and_b64 vcc, exec, s[28:29]
	s_cbranch_vccz .LBB3_2
; %bb.1:
	v_mov_b32_e32 v1, s3
	v_add_co_u32_e32 v5, vcc, s2, v31
	v_addc_co_u32_e32 v6, vcc, 0, v1, vcc
	v_add_co_u32_e32 v1, vcc, 0x1000, v5
	v_addc_co_u32_e32 v2, vcc, 0, v6, vcc
	;; [unrolled: 2-line block ×3, first 2 shown]
	global_load_dword v7, v31, s[2:3]
	global_load_dword v8, v31, s[2:3] offset:1024
	global_load_dword v9, v31, s[2:3] offset:2048
	;; [unrolled: 1-line block ×3, first 2 shown]
	global_load_dword v11, v[1:2], off
	global_load_dword v12, v[1:2], off offset:1024
	global_load_dword v13, v[1:2], off offset:2048
	global_load_dword v14, v[1:2], off offset:3072
	global_load_dword v15, v[3:4], off
	global_load_dword v16, v[3:4], off offset:1024
	global_load_dword v17, v[3:4], off offset:2048
	;; [unrolled: 1-line block ×3, first 2 shown]
	v_add_co_u32_e32 v1, vcc, 0x3000, v5
	v_addc_co_u32_e32 v2, vcc, 0, v6, vcc
	global_load_dword v3, v[1:2], off
	global_load_dword v4, v[1:2], off offset:1024
	global_load_dword v5, v[1:2], off offset:2048
	s_mov_b64 s[0:1], 0
	s_waitcnt vmcnt(13)
	ds_write2st64_b32 v31, v7, v8 offset1:4
	s_waitcnt vmcnt(11)
	ds_write2st64_b32 v31, v9, v10 offset0:8 offset1:12
	s_waitcnt vmcnt(9)
	ds_write2st64_b32 v31, v11, v12 offset0:16 offset1:20
	;; [unrolled: 2-line block ×6, first 2 shown]
	s_waitcnt vmcnt(0)
	ds_write_b32 v31, v5 offset:14336
	s_waitcnt lgkmcnt(0)
	s_barrier
.LBB3_2:
	s_andn2_b64 vcc, exec, s[0:1]
	v_cmp_gt_u32_e64 s[0:1], s23, v0
	s_cbranch_vccnz .LBB3_34
; %bb.3:
	s_load_dword s8, s[2:3], 0x0
	v_mov_b32_e32 v1, s3
	v_add_co_u32_e32 v17, vcc, s2, v31
	v_addc_co_u32_e32 v18, vcc, 0, v1, vcc
	s_waitcnt lgkmcnt(0)
	s_mov_b32 s9, s8
	s_mov_b32 s10, s8
	;; [unrolled: 1-line block ×14, first 2 shown]
	v_mov_b32_e32 v1, s8
	v_mov_b32_e32 v2, s9
	;; [unrolled: 1-line block ×16, first 2 shown]
	s_and_saveexec_b64 s[2:3], s[0:1]
	s_cbranch_execz .LBB3_5
; %bb.4:
	global_load_dword v1, v[17:18], off
	v_mov_b32_e32 v2, s8
	v_mov_b32_e32 v3, s8
	;; [unrolled: 1-line block ×14, first 2 shown]
.LBB3_5:
	s_or_b64 exec, exec, s[2:3]
	v_or_b32_e32 v16, 0x100, v0
	v_cmp_gt_u32_e32 vcc, s23, v16
	s_and_saveexec_b64 s[0:1], vcc
	s_cbranch_execz .LBB3_7
; %bb.6:
	global_load_dword v2, v[17:18], off offset:1024
.LBB3_7:
	s_or_b64 exec, exec, s[0:1]
	v_or_b32_e32 v16, 0x200, v0
	v_cmp_gt_u32_e32 vcc, s23, v16
	s_and_saveexec_b64 s[0:1], vcc
	s_cbranch_execz .LBB3_9
; %bb.8:
	global_load_dword v3, v[17:18], off offset:2048
.LBB3_9:
	;; [unrolled: 8-line block ×3, first 2 shown]
	s_or_b64 exec, exec, s[0:1]
	v_or_b32_e32 v16, 0x400, v0
	v_cmp_gt_u32_e32 vcc, s23, v16
	s_and_saveexec_b64 s[0:1], vcc
	s_cbranch_execz .LBB3_13
; %bb.12:
	v_add_co_u32_e32 v19, vcc, 0x1000, v17
	v_addc_co_u32_e32 v20, vcc, 0, v18, vcc
	global_load_dword v5, v[19:20], off
.LBB3_13:
	s_or_b64 exec, exec, s[0:1]
	v_or_b32_e32 v16, 0x500, v0
	v_cmp_gt_u32_e32 vcc, s23, v16
	s_and_saveexec_b64 s[0:1], vcc
	s_cbranch_execz .LBB3_15
; %bb.14:
	v_add_co_u32_e32 v19, vcc, 0x1000, v17
	v_addc_co_u32_e32 v20, vcc, 0, v18, vcc
	global_load_dword v6, v[19:20], off offset:1024
.LBB3_15:
	s_or_b64 exec, exec, s[0:1]
	v_or_b32_e32 v16, 0x600, v0
	v_cmp_gt_u32_e32 vcc, s23, v16
	s_and_saveexec_b64 s[0:1], vcc
	s_cbranch_execz .LBB3_17
; %bb.16:
	v_add_co_u32_e32 v19, vcc, 0x1000, v17
	v_addc_co_u32_e32 v20, vcc, 0, v18, vcc
	global_load_dword v7, v[19:20], off offset:2048
.LBB3_17:
	;; [unrolled: 10-line block ×3, first 2 shown]
	s_or_b64 exec, exec, s[0:1]
	v_or_b32_e32 v16, 0x800, v0
	v_cmp_gt_u32_e32 vcc, s23, v16
	s_and_saveexec_b64 s[0:1], vcc
	s_cbranch_execz .LBB3_21
; %bb.20:
	v_add_co_u32_e32 v19, vcc, 0x2000, v17
	v_addc_co_u32_e32 v20, vcc, 0, v18, vcc
	global_load_dword v9, v[19:20], off
.LBB3_21:
	s_or_b64 exec, exec, s[0:1]
	v_or_b32_e32 v16, 0x900, v0
	v_cmp_gt_u32_e32 vcc, s23, v16
	s_and_saveexec_b64 s[0:1], vcc
	s_cbranch_execz .LBB3_23
; %bb.22:
	v_add_co_u32_e32 v19, vcc, 0x2000, v17
	v_addc_co_u32_e32 v20, vcc, 0, v18, vcc
	global_load_dword v10, v[19:20], off offset:1024
.LBB3_23:
	s_or_b64 exec, exec, s[0:1]
	v_or_b32_e32 v16, 0xa00, v0
	v_cmp_gt_u32_e32 vcc, s23, v16
	s_and_saveexec_b64 s[0:1], vcc
	s_cbranch_execz .LBB3_25
; %bb.24:
	v_add_co_u32_e32 v19, vcc, 0x2000, v17
	v_addc_co_u32_e32 v20, vcc, 0, v18, vcc
	global_load_dword v11, v[19:20], off offset:2048
.LBB3_25:
	;; [unrolled: 10-line block ×3, first 2 shown]
	s_or_b64 exec, exec, s[0:1]
	v_or_b32_e32 v16, 0xc00, v0
	v_cmp_gt_u32_e32 vcc, s23, v16
	s_and_saveexec_b64 s[0:1], vcc
	s_cbranch_execz .LBB3_29
; %bb.28:
	v_add_co_u32_e32 v19, vcc, 0x3000, v17
	v_addc_co_u32_e32 v20, vcc, 0, v18, vcc
	global_load_dword v13, v[19:20], off
.LBB3_29:
	s_or_b64 exec, exec, s[0:1]
	v_or_b32_e32 v16, 0xd00, v0
	v_cmp_gt_u32_e32 vcc, s23, v16
	s_and_saveexec_b64 s[0:1], vcc
	s_cbranch_execz .LBB3_31
; %bb.30:
	v_add_co_u32_e32 v19, vcc, 0x3000, v17
	v_addc_co_u32_e32 v20, vcc, 0, v18, vcc
	global_load_dword v14, v[19:20], off offset:1024
.LBB3_31:
	s_or_b64 exec, exec, s[0:1]
	v_or_b32_e32 v16, 0xe00, v0
	v_cmp_gt_u32_e32 vcc, s23, v16
	s_and_saveexec_b64 s[0:1], vcc
	s_cbranch_execz .LBB3_33
; %bb.32:
	v_add_co_u32_e32 v15, vcc, 0x3000, v17
	v_addc_co_u32_e32 v16, vcc, 0, v18, vcc
	global_load_dword v15, v[15:16], off offset:2048
.LBB3_33:
	s_or_b64 exec, exec, s[0:1]
	s_waitcnt vmcnt(0)
	ds_write2st64_b32 v31, v1, v2 offset1:4
	ds_write2st64_b32 v31, v3, v4 offset0:8 offset1:12
	ds_write2st64_b32 v31, v5, v6 offset0:16 offset1:20
	;; [unrolled: 1-line block ×6, first 2 shown]
	ds_write_b32 v31, v15 offset:14336
	s_waitcnt lgkmcnt(0)
	s_barrier
.LBB3_34:
	v_mul_u32_u24_e32 v32, 60, v0
	ds_read2_b32 v[1:2], v32 offset1:1
	ds_read2_b32 v[29:30], v32 offset0:2 offset1:3
	ds_read2_b32 v[27:28], v32 offset0:4 offset1:5
	;; [unrolled: 1-line block ×6, first 2 shown]
	ds_read_b32 v33, v32 offset:56
	s_load_dwordx2 s[12:13], s[4:5], 0x20
	s_cmp_lg_u32 s6, 0
	v_lshrrev_b32_e32 v34, 3, v0
	v_cmp_gt_u32_e32 vcc, 64, v0
	s_waitcnt lgkmcnt(0)
	s_barrier
	s_cbranch_scc0 .LBB3_54
; %bb.35:
	v_add3_u32 v3, v2, v1, v29
	v_add3_u32 v3, v3, v30, v27
	;; [unrolled: 1-line block ×6, first 2 shown]
	v_and_b32_e32 v4, 28, v34
	v_add3_u32 v3, v3, v20, v33
	v_lshl_add_u32 v4, v0, 2, v4
	ds_write_b32 v4, v3
	s_waitcnt lgkmcnt(0)
	s_barrier
	s_and_saveexec_b64 s[2:3], vcc
	s_cbranch_execz .LBB3_37
; %bb.36:
	v_lshrrev_b32_e32 v4, 1, v0
	v_and_b32_e32 v4, 0x7c, v4
	v_lshl_add_u32 v8, v0, 4, v4
	ds_read2_b32 v[4:5], v8 offset1:1
	ds_read2_b32 v[6:7], v8 offset0:2 offset1:3
	v_mbcnt_lo_u32_b32 v9, -1, 0
	v_mbcnt_hi_u32_b32 v9, -1, v9
	v_and_b32_e32 v10, 15, v9
	s_waitcnt lgkmcnt(1)
	v_add_u32_e32 v11, v5, v4
	s_waitcnt lgkmcnt(0)
	v_add3_u32 v11, v11, v6, v7
	v_cmp_ne_u32_e64 s[0:1], 0, v10
	s_nop 0
	v_mov_b32_dpp v12, v11 row_shr:1 row_mask:0xf bank_mask:0xf
	v_cndmask_b32_e64 v12, 0, v12, s[0:1]
	v_add_u32_e32 v11, v12, v11
	v_cmp_lt_u32_e64 s[0:1], 1, v10
	s_nop 0
	v_mov_b32_dpp v12, v11 row_shr:2 row_mask:0xf bank_mask:0xf
	v_cndmask_b32_e64 v12, 0, v12, s[0:1]
	v_add_u32_e32 v11, v11, v12
	v_cmp_lt_u32_e64 s[0:1], 3, v10
	;; [unrolled: 5-line block ×3, first 2 shown]
	s_nop 0
	v_mov_b32_dpp v12, v11 row_shr:8 row_mask:0xf bank_mask:0xf
	v_cndmask_b32_e64 v10, 0, v12, s[0:1]
	v_add_u32_e32 v10, v11, v10
	v_bfe_i32 v12, v9, 4, 1
	v_cmp_lt_u32_e64 s[0:1], 31, v9
	v_mov_b32_dpp v11, v10 row_bcast:15 row_mask:0xf bank_mask:0xf
	v_and_b32_e32 v11, v12, v11
	v_add_u32_e32 v10, v10, v11
	v_and_b32_e32 v12, 64, v9
	s_nop 0
	v_mov_b32_dpp v11, v10 row_bcast:31 row_mask:0xf bank_mask:0xf
	v_cndmask_b32_e64 v11, 0, v11, s[0:1]
	v_add_u32_e32 v10, v10, v11
	v_add_u32_e32 v11, -1, v9
	v_cmp_lt_i32_e64 s[0:1], v11, v12
	v_cndmask_b32_e64 v9, v11, v9, s[0:1]
	v_lshlrev_b32_e32 v9, 2, v9
	ds_bpermute_b32 v9, v9, v10
	v_cmp_eq_u32_e64 s[0:1], 0, v0
	s_waitcnt lgkmcnt(0)
	v_add_u32_e32 v4, v9, v4
	v_cndmask_b32_e64 v3, v4, v3, s[0:1]
	v_add_u32_e32 v4, v3, v5
	ds_write2_b32 v8, v3, v4 offset1:1
	v_add_u32_e32 v3, v4, v6
	v_add_u32_e32 v4, v3, v7
	ds_write2_b32 v8, v3, v4 offset0:2 offset1:3
.LBB3_37:
	s_or_b64 exec, exec, s[2:3]
	v_mov_b32_e32 v12, 0
	v_cmp_eq_u32_e64 s[0:1], 0, v0
	v_cmp_ne_u32_e64 s[2:3], 0, v0
	s_waitcnt lgkmcnt(0)
	s_barrier
	s_and_saveexec_b64 s[8:9], s[2:3]
; %bb.38:
	v_add_u32_e32 v3, -1, v0
	v_lshrrev_b32_e32 v4, 3, v3
	v_and_b32_e32 v4, 0x1ffffffc, v4
	v_lshl_add_u32 v3, v3, 2, v4
	ds_read_b32 v12, v3
; %bb.39:
	s_or_b64 exec, exec, s[8:9]
	s_and_saveexec_b64 s[8:9], vcc
	s_cbranch_execz .LBB3_59
; %bb.40:
	v_mov_b32_e32 v8, 0
	ds_read_b32 v3, v8 offset:1048
	v_mbcnt_lo_u32_b32 v4, -1, 0
	v_mbcnt_hi_u32_b32 v5, -1, v4
	s_mov_b32 s15, 0
	v_cmp_eq_u32_e64 s[2:3], 0, v5
	s_and_saveexec_b64 s[10:11], s[2:3]
	s_cbranch_execz .LBB3_42
; %bb.41:
	s_add_i32 s14, s6, 64
	s_lshl_b64 s[14:15], s[14:15], 3
	s_add_u32 s14, s12, s14
	v_mov_b32_e32 v4, 1
	s_addc_u32 s15, s13, s15
	s_waitcnt lgkmcnt(0)
	global_store_dwordx2 v8, v[3:4], s[14:15]
.LBB3_42:
	s_or_b64 exec, exec, s[10:11]
	v_xad_u32 v4, v5, -1, s6
	v_add_u32_e32 v7, 64, v4
	v_lshlrev_b64 v[6:7], 3, v[7:8]
	v_mov_b32_e32 v10, s13
	v_add_co_u32_e32 v9, vcc, s12, v6
	v_addc_co_u32_e32 v10, vcc, v10, v7, vcc
	global_load_dwordx2 v[6:7], v[9:10], off glc
	s_waitcnt vmcnt(0)
	v_cmp_eq_u16_sdwa s[14:15], v7, v8 src0_sel:BYTE_0 src1_sel:DWORD
	s_and_saveexec_b64 s[10:11], s[14:15]
	s_cbranch_execz .LBB3_46
; %bb.43:
	s_mov_b64 s[14:15], 0
	v_mov_b32_e32 v8, 0
.LBB3_44:                               ; =>This Inner Loop Header: Depth=1
	global_load_dwordx2 v[6:7], v[9:10], off glc
	s_waitcnt vmcnt(0)
	v_cmp_ne_u16_sdwa s[16:17], v7, v8 src0_sel:BYTE_0 src1_sel:DWORD
	s_or_b64 s[14:15], s[16:17], s[14:15]
	s_andn2_b64 exec, exec, s[14:15]
	s_cbranch_execnz .LBB3_44
; %bb.45:
	s_or_b64 exec, exec, s[14:15]
.LBB3_46:
	s_or_b64 exec, exec, s[10:11]
	v_and_b32_e32 v36, 63, v5
	v_mov_b32_e32 v13, 2
	v_lshlrev_b64 v[8:9], v5, -1
	v_cmp_ne_u32_e32 vcc, 63, v36
	v_cmp_eq_u16_sdwa s[10:11], v7, v13 src0_sel:BYTE_0 src1_sel:DWORD
	v_addc_co_u32_e32 v14, vcc, 0, v5, vcc
	v_and_b32_e32 v10, s11, v9
	v_lshlrev_b32_e32 v14, 2, v14
	v_or_b32_e32 v10, 0x80000000, v10
	ds_bpermute_b32 v16, v14, v6
	v_and_b32_e32 v11, s10, v8
	v_ffbl_b32_e32 v10, v10
	v_add_u32_e32 v10, 32, v10
	v_ffbl_b32_e32 v11, v11
	v_min_u32_e32 v10, v11, v10
	v_add_u32_e32 v15, 1, v5
	v_cmp_le_u32_e32 vcc, v15, v10
	s_waitcnt lgkmcnt(0)
	v_cndmask_b32_e32 v11, 0, v16, vcc
	v_cmp_gt_u32_e32 vcc, 62, v36
	v_add_u32_e32 v6, v11, v6
	v_cndmask_b32_e64 v11, 0, 2, vcc
	v_add_lshl_u32 v16, v11, v5, 2
	ds_bpermute_b32 v11, v16, v6
	v_add_u32_e32 v17, 2, v5
	v_cmp_le_u32_e32 vcc, v17, v10
	v_add_u32_e32 v35, 4, v5
	v_add_u32_e32 v38, 8, v5
	s_waitcnt lgkmcnt(0)
	v_cndmask_b32_e32 v11, 0, v11, vcc
	v_cmp_gt_u32_e32 vcc, 60, v36
	v_add_u32_e32 v6, v6, v11
	v_cndmask_b32_e64 v11, 0, 4, vcc
	v_add_lshl_u32 v18, v11, v5, 2
	ds_bpermute_b32 v11, v18, v6
	v_cmp_le_u32_e32 vcc, v35, v10
	v_add_u32_e32 v40, 16, v5
	v_add_u32_e32 v42, 32, v5
	s_waitcnt lgkmcnt(0)
	v_cndmask_b32_e32 v11, 0, v11, vcc
	v_cmp_gt_u32_e32 vcc, 56, v36
	v_add_u32_e32 v6, v6, v11
	v_cndmask_b32_e64 v11, 0, 8, vcc
	v_add_lshl_u32 v37, v11, v5, 2
	ds_bpermute_b32 v11, v37, v6
	v_cmp_le_u32_e32 vcc, v38, v10
	s_waitcnt lgkmcnt(0)
	v_cndmask_b32_e32 v11, 0, v11, vcc
	v_cmp_gt_u32_e32 vcc, 48, v36
	v_add_u32_e32 v6, v6, v11
	v_cndmask_b32_e64 v11, 0, 16, vcc
	v_add_lshl_u32 v39, v11, v5, 2
	ds_bpermute_b32 v11, v39, v6
	v_cmp_le_u32_e32 vcc, v40, v10
	s_waitcnt lgkmcnt(0)
	v_cndmask_b32_e32 v11, 0, v11, vcc
	v_add_u32_e32 v6, v6, v11
	v_mov_b32_e32 v11, 0x80
	v_lshl_or_b32 v41, v5, 2, v11
	ds_bpermute_b32 v11, v41, v6
	v_cmp_le_u32_e32 vcc, v42, v10
	s_waitcnt lgkmcnt(0)
	v_cndmask_b32_e32 v5, 0, v11, vcc
	v_add_u32_e32 v6, v6, v5
	v_mov_b32_e32 v5, 0
	s_branch .LBB3_50
.LBB3_47:                               ;   in Loop: Header=BB3_50 Depth=1
	s_or_b64 exec, exec, s[14:15]
.LBB3_48:                               ;   in Loop: Header=BB3_50 Depth=1
	s_or_b64 exec, exec, s[10:11]
	v_cmp_eq_u16_sdwa s[10:11], v7, v13 src0_sel:BYTE_0 src1_sel:DWORD
	v_and_b32_e32 v10, s11, v9
	v_or_b32_e32 v10, 0x80000000, v10
	ds_bpermute_b32 v43, v14, v6
	v_and_b32_e32 v11, s10, v8
	v_ffbl_b32_e32 v10, v10
	v_add_u32_e32 v10, 32, v10
	v_ffbl_b32_e32 v11, v11
	v_min_u32_e32 v10, v11, v10
	v_cmp_le_u32_e32 vcc, v15, v10
	s_waitcnt lgkmcnt(0)
	v_cndmask_b32_e32 v11, 0, v43, vcc
	v_add_u32_e32 v6, v11, v6
	ds_bpermute_b32 v11, v16, v6
	v_cmp_le_u32_e32 vcc, v17, v10
	v_subrev_u32_e32 v4, 64, v4
	s_mov_b64 s[10:11], 0
	s_waitcnt lgkmcnt(0)
	v_cndmask_b32_e32 v11, 0, v11, vcc
	v_add_u32_e32 v6, v6, v11
	ds_bpermute_b32 v11, v18, v6
	v_cmp_le_u32_e32 vcc, v35, v10
	s_waitcnt lgkmcnt(0)
	v_cndmask_b32_e32 v11, 0, v11, vcc
	v_add_u32_e32 v6, v6, v11
	ds_bpermute_b32 v11, v37, v6
	v_cmp_le_u32_e32 vcc, v38, v10
	;; [unrolled: 5-line block ×4, first 2 shown]
	s_waitcnt lgkmcnt(0)
	v_cndmask_b32_e32 v10, 0, v11, vcc
	v_add3_u32 v6, v10, v36, v6
.LBB3_49:                               ;   in Loop: Header=BB3_50 Depth=1
	s_and_b64 vcc, exec, s[10:11]
	s_cbranch_vccnz .LBB3_55
.LBB3_50:                               ; =>This Loop Header: Depth=1
                                        ;     Child Loop BB3_53 Depth 2
	v_cmp_ne_u16_sdwa s[10:11], v7, v13 src0_sel:BYTE_0 src1_sel:DWORD
	v_mov_b32_e32 v36, v6
	s_cmp_lg_u64 s[10:11], exec
	s_mov_b64 s[10:11], -1
                                        ; implicit-def: $vgpr6
                                        ; implicit-def: $vgpr7
	s_cbranch_scc1 .LBB3_49
; %bb.51:                               ;   in Loop: Header=BB3_50 Depth=1
	v_lshlrev_b64 v[6:7], 3, v[4:5]
	v_mov_b32_e32 v11, s13
	v_add_co_u32_e32 v10, vcc, s12, v6
	v_addc_co_u32_e32 v11, vcc, v11, v7, vcc
	global_load_dwordx2 v[6:7], v[10:11], off glc
	s_waitcnt vmcnt(0)
	v_cmp_eq_u16_sdwa s[14:15], v7, v5 src0_sel:BYTE_0 src1_sel:DWORD
	s_and_saveexec_b64 s[10:11], s[14:15]
	s_cbranch_execz .LBB3_48
; %bb.52:                               ;   in Loop: Header=BB3_50 Depth=1
	s_mov_b64 s[14:15], 0
.LBB3_53:                               ;   Parent Loop BB3_50 Depth=1
                                        ; =>  This Inner Loop Header: Depth=2
	global_load_dwordx2 v[6:7], v[10:11], off glc
	s_waitcnt vmcnt(0)
	v_cmp_ne_u16_sdwa s[16:17], v7, v5 src0_sel:BYTE_0 src1_sel:DWORD
	s_or_b64 s[14:15], s[16:17], s[14:15]
	s_andn2_b64 exec, exec, s[14:15]
	s_cbranch_execnz .LBB3_53
	s_branch .LBB3_47
.LBB3_54:
                                        ; implicit-def: $vgpr3_vgpr4_vgpr5_vgpr6_vgpr7_vgpr8_vgpr9_vgpr10_vgpr11_vgpr12_vgpr13_vgpr14_vgpr15_vgpr16_vgpr17_vgpr18
	s_load_dwordx4 s[8:11], s[4:5], 0x30
	s_cbranch_execnz .LBB3_60
	s_branch .LBB3_69
.LBB3_55:
	s_and_saveexec_b64 s[10:11], s[2:3]
	s_cbranch_execz .LBB3_57
; %bb.56:
	s_add_i32 s2, s6, 64
	s_mov_b32 s3, 0
	s_lshl_b64 s[2:3], s[2:3], 3
	s_add_u32 s2, s12, s2
	v_add_u32_e32 v3, v36, v3
	v_mov_b32_e32 v4, 2
	s_addc_u32 s3, s13, s3
	v_mov_b32_e32 v5, 0
	global_store_dwordx2 v5, v[3:4], s[2:3]
.LBB3_57:
	s_or_b64 exec, exec, s[10:11]
	s_and_b64 exec, exec, s[0:1]
; %bb.58:
	v_mov_b32_e32 v3, 0
	ds_write_b32 v3, v36
.LBB3_59:
	s_or_b64 exec, exec, s[8:9]
	v_mov_b32_e32 v3, 0
	s_waitcnt vmcnt(0) lgkmcnt(0)
	s_barrier
	ds_read_b32 v3, v3
	s_waitcnt lgkmcnt(0)
	v_add3_u32 v3, v12, v1, v3
	v_add_u32_e32 v4, v3, v2
	v_add_u32_e32 v5, v4, v29
	;; [unrolled: 1-line block ×14, first 2 shown]
	s_load_dwordx4 s[8:11], s[4:5], 0x30
	s_branch .LBB3_69
.LBB3_60:
	s_load_dword s2, s[4:5], 0x40
	v_cmp_eq_u32_e32 vcc, 0, v0
	v_cmp_ne_u32_e64 s[0:1], 0, v0
	s_waitcnt lgkmcnt(0)
	s_bitcmp1_b32 s2, 0
	s_cselect_b64 s[2:3], -1, 0
	s_and_b64 s[6:7], vcc, s[2:3]
	s_and_saveexec_b64 s[2:3], s[6:7]
	s_cbranch_execz .LBB3_62
; %bb.61:
	v_mov_b32_e32 v3, 0
	global_load_dword v3, v3, s[8:9]
	s_waitcnt vmcnt(0)
	v_add_u32_e32 v1, v3, v1
.LBB3_62:
	s_or_b64 exec, exec, s[2:3]
	v_add_u32_e32 v16, v2, v1
	v_add_u32_e32 v3, v16, v29
	;; [unrolled: 1-line block ×13, first 2 shown]
	v_and_b32_e32 v17, 28, v34
	v_add_u32_e32 v15, v14, v33
	v_lshl_add_u32 v17, v0, 2, v17
	v_cmp_gt_u32_e64 s[2:3], 64, v0
	ds_write_b32 v17, v15
	s_waitcnt lgkmcnt(0)
	s_barrier
	s_and_saveexec_b64 s[6:7], s[2:3]
	s_cbranch_execz .LBB3_64
; %bb.63:
	v_lshrrev_b32_e32 v17, 1, v0
	v_and_b32_e32 v17, 0x7c, v17
	v_lshl_add_u32 v36, v0, 4, v17
	ds_read2_b32 v[17:18], v36 offset1:1
	ds_read2_b32 v[34:35], v36 offset0:2 offset1:3
	v_mbcnt_lo_u32_b32 v37, -1, 0
	v_mbcnt_hi_u32_b32 v37, -1, v37
	v_and_b32_e32 v38, 15, v37
	s_waitcnt lgkmcnt(1)
	v_add_u32_e32 v39, v18, v17
	s_waitcnt lgkmcnt(0)
	v_add3_u32 v39, v39, v34, v35
	v_cmp_ne_u32_e64 s[2:3], 0, v38
	s_nop 0
	v_mov_b32_dpp v40, v39 row_shr:1 row_mask:0xf bank_mask:0xf
	v_cndmask_b32_e64 v40, 0, v40, s[2:3]
	v_add_u32_e32 v39, v40, v39
	v_cmp_lt_u32_e64 s[2:3], 1, v38
	s_nop 0
	v_mov_b32_dpp v40, v39 row_shr:2 row_mask:0xf bank_mask:0xf
	v_cndmask_b32_e64 v40, 0, v40, s[2:3]
	v_add_u32_e32 v39, v39, v40
	v_cmp_lt_u32_e64 s[2:3], 3, v38
	;; [unrolled: 5-line block ×3, first 2 shown]
	s_nop 0
	v_mov_b32_dpp v40, v39 row_shr:8 row_mask:0xf bank_mask:0xf
	v_cndmask_b32_e64 v38, 0, v40, s[2:3]
	v_add_u32_e32 v38, v39, v38
	v_bfe_i32 v40, v37, 4, 1
	v_cmp_lt_u32_e64 s[2:3], 31, v37
	v_mov_b32_dpp v39, v38 row_bcast:15 row_mask:0xf bank_mask:0xf
	v_and_b32_e32 v39, v40, v39
	v_add_u32_e32 v38, v38, v39
	v_and_b32_e32 v40, 64, v37
	s_nop 0
	v_mov_b32_dpp v39, v38 row_bcast:31 row_mask:0xf bank_mask:0xf
	v_cndmask_b32_e64 v39, 0, v39, s[2:3]
	v_add_u32_e32 v38, v38, v39
	v_add_u32_e32 v39, -1, v37
	v_cmp_lt_i32_e64 s[2:3], v39, v40
	v_cndmask_b32_e64 v37, v39, v37, s[2:3]
	v_lshlrev_b32_e32 v37, 2, v37
	ds_bpermute_b32 v37, v37, v38
	s_waitcnt lgkmcnt(0)
	v_add_u32_e32 v17, v37, v17
	v_cndmask_b32_e32 v17, v17, v15, vcc
	v_add_u32_e32 v18, v17, v18
	ds_write2_b32 v36, v17, v18 offset1:1
	v_add_u32_e32 v17, v18, v34
	v_add_u32_e32 v18, v17, v35
	ds_write2_b32 v36, v17, v18 offset0:2 offset1:3
.LBB3_64:
	s_or_b64 exec, exec, s[6:7]
	s_waitcnt lgkmcnt(0)
	s_barrier
	s_and_saveexec_b64 s[2:3], s[0:1]
	s_cbranch_execz .LBB3_66
; %bb.65:
	v_add_u32_e32 v3, -1, v0
	v_lshrrev_b32_e32 v4, 3, v3
	v_and_b32_e32 v4, 0x1ffffffc, v4
	v_lshl_add_u32 v3, v3, 2, v4
	ds_read_b32 v3, v3
	s_waitcnt lgkmcnt(0)
	v_add_u32_e32 v1, v3, v1
	v_add_u32_e32 v16, v1, v2
	;; [unrolled: 1-line block ×15, first 2 shown]
.LBB3_66:
	s_or_b64 exec, exec, s[2:3]
	s_and_saveexec_b64 s[0:1], vcc
	s_cbranch_execz .LBB3_68
; %bb.67:
	v_mov_b32_e32 v2, 0
	ds_read_b32 v17, v2 offset:1048
	v_mov_b32_e32 v18, 2
	s_waitcnt lgkmcnt(0)
	global_store_dwordx2 v2, v[17:18], s[12:13] offset:512
.LBB3_68:
	s_or_b64 exec, exec, s[0:1]
	v_mov_b32_e32 v2, v16
	v_mov_b32_e32 v18, v16
	;; [unrolled: 1-line block ×17, first 2 shown]
.LBB3_69:
	s_add_u32 s0, s26, s30
	s_addc_u32 s1, s27, s31
	s_mov_b64 s[2:3], -1
	s_and_b64 vcc, exec, s[28:29]
	s_waitcnt vmcnt(0) lgkmcnt(0)
	s_barrier
	s_cbranch_vccz .LBB3_71
; %bb.70:
	v_mov_b32_e32 v33, s1
	v_add_co_u32_e32 v34, vcc, s0, v31
	ds_write2_b32 v32, v3, v4 offset1:1
	ds_write2_b32 v32, v5, v6 offset0:2 offset1:3
	ds_write2_b32 v32, v7, v8 offset0:4 offset1:5
	;; [unrolled: 1-line block ×6, first 2 shown]
	ds_write_b32 v32, v17 offset:56
	s_waitcnt lgkmcnt(0)
	s_barrier
	ds_read2st64_b32 v[1:2], v31 offset1:4
	ds_read2st64_b32 v[18:19], v31 offset0:8 offset1:12
	ds_read2st64_b32 v[20:21], v31 offset0:16 offset1:20
	;; [unrolled: 1-line block ×6, first 2 shown]
	ds_read_b32 v30, v31 offset:14336
	v_addc_co_u32_e32 v33, vcc, 0, v33, vcc
	s_movk_i32 s2, 0x1000
	s_waitcnt lgkmcnt(7)
	global_store_dword v31, v1, s[0:1]
	global_store_dword v31, v2, s[0:1] offset:1024
	s_waitcnt lgkmcnt(6)
	global_store_dword v31, v18, s[0:1] offset:2048
	global_store_dword v31, v19, s[0:1] offset:3072
	v_add_co_u32_e32 v1, vcc, s2, v34
	v_addc_co_u32_e32 v2, vcc, 0, v33, vcc
	s_movk_i32 s2, 0x2000
	v_add_co_u32_e32 v18, vcc, s2, v34
	v_addc_co_u32_e32 v19, vcc, 0, v33, vcc
	s_waitcnt lgkmcnt(5)
	global_store_dword v[18:19], v20, off offset:-4096
	global_store_dword v[1:2], v21, off offset:1024
	s_waitcnt lgkmcnt(4)
	global_store_dword v[1:2], v22, off offset:2048
	global_store_dword v[1:2], v23, off offset:3072
	s_waitcnt lgkmcnt(3)
	global_store_dword v[18:19], v24, off
	global_store_dword v[18:19], v25, off offset:1024
	s_waitcnt lgkmcnt(2)
	global_store_dword v[18:19], v26, off offset:2048
	global_store_dword v[18:19], v27, off offset:3072
	v_add_co_u32_e32 v1, vcc, 0x3000, v34
	v_addc_co_u32_e32 v2, vcc, 0, v33, vcc
	s_waitcnt lgkmcnt(1)
	global_store_dword v[1:2], v28, off
	global_store_dword v[1:2], v29, off offset:1024
	s_waitcnt lgkmcnt(0)
	global_store_dword v[1:2], v30, off offset:2048
	s_mov_b64 s[2:3], 0
.LBB3_71:
	s_andn2_b64 vcc, exec, s[2:3]
	s_cbranch_vccnz .LBB3_157
; %bb.72:
	ds_write2_b32 v32, v3, v4 offset1:1
	ds_write2_b32 v32, v5, v6 offset0:2 offset1:3
	ds_write2_b32 v32, v7, v8 offset0:4 offset1:5
	;; [unrolled: 1-line block ×6, first 2 shown]
	ds_write_b32 v32, v17 offset:56
	s_waitcnt vmcnt(0) lgkmcnt(0)
	s_barrier
	ds_read2st64_b32 v[4:5], v31 offset1:4
	ds_read2st64_b32 v[8:9], v31 offset0:8 offset1:12
	ds_read2st64_b32 v[6:7], v31 offset0:16 offset1:20
	;; [unrolled: 1-line block ×6, first 2 shown]
	ds_read_b32 v18, v31 offset:14336
	v_mov_b32_e32 v17, s1
	v_add_co_u32_e32 v16, vcc, s0, v31
	v_addc_co_u32_e32 v17, vcc, 0, v17, vcc
	v_mov_b32_e32 v1, 0
	v_cmp_gt_u32_e32 vcc, s23, v0
	s_and_saveexec_b64 s[0:1], vcc
	s_cbranch_execz .LBB3_74
; %bb.73:
	s_waitcnt lgkmcnt(7)
	global_store_dword v[16:17], v4, off
.LBB3_74:
	s_or_b64 exec, exec, s[0:1]
	v_or_b32_e32 v19, 0x100, v0
	v_cmp_gt_u32_e32 vcc, s23, v19
	s_and_saveexec_b64 s[0:1], vcc
	s_cbranch_execz .LBB3_76
; %bb.75:
	s_waitcnt lgkmcnt(7)
	global_store_dword v[16:17], v5, off offset:1024
.LBB3_76:
	s_or_b64 exec, exec, s[0:1]
	v_or_b32_e32 v19, 0x200, v0
	v_cmp_gt_u32_e32 vcc, s23, v19
	s_and_saveexec_b64 s[0:1], vcc
	s_cbranch_execz .LBB3_78
; %bb.77:
	s_waitcnt lgkmcnt(6)
	global_store_dword v[16:17], v8, off offset:2048
.LBB3_78:
	;; [unrolled: 9-line block ×3, first 2 shown]
	s_or_b64 exec, exec, s[0:1]
	v_or_b32_e32 v19, 0x400, v0
	v_cmp_gt_u32_e32 vcc, s23, v19
	s_and_saveexec_b64 s[0:1], vcc
	s_cbranch_execz .LBB3_82
; %bb.81:
	v_add_co_u32_e32 v19, vcc, 0x1000, v16
	v_addc_co_u32_e32 v20, vcc, 0, v17, vcc
	s_waitcnt lgkmcnt(5)
	global_store_dword v[19:20], v6, off
.LBB3_82:
	s_or_b64 exec, exec, s[0:1]
	v_or_b32_e32 v19, 0x500, v0
	v_cmp_gt_u32_e32 vcc, s23, v19
	s_and_saveexec_b64 s[0:1], vcc
	s_cbranch_execz .LBB3_84
; %bb.83:
	v_add_co_u32_e32 v19, vcc, 0x1000, v16
	v_addc_co_u32_e32 v20, vcc, 0, v17, vcc
	s_waitcnt lgkmcnt(5)
	global_store_dword v[19:20], v7, off offset:1024
.LBB3_84:
	s_or_b64 exec, exec, s[0:1]
	v_or_b32_e32 v19, 0x600, v0
	v_cmp_gt_u32_e32 vcc, s23, v19
	s_and_saveexec_b64 s[0:1], vcc
	s_cbranch_execz .LBB3_86
; %bb.85:
	v_add_co_u32_e32 v19, vcc, 0x1000, v16
	v_addc_co_u32_e32 v20, vcc, 0, v17, vcc
	s_waitcnt lgkmcnt(4)
	global_store_dword v[19:20], v14, off offset:2048
.LBB3_86:
	;; [unrolled: 11-line block ×3, first 2 shown]
	s_or_b64 exec, exec, s[0:1]
	v_or_b32_e32 v19, 0x800, v0
	v_cmp_gt_u32_e32 vcc, s23, v19
	s_and_saveexec_b64 s[0:1], vcc
	s_cbranch_execz .LBB3_90
; %bb.89:
	v_add_co_u32_e32 v19, vcc, 0x2000, v16
	v_addc_co_u32_e32 v20, vcc, 0, v17, vcc
	s_waitcnt lgkmcnt(3)
	global_store_dword v[19:20], v10, off
.LBB3_90:
	s_or_b64 exec, exec, s[0:1]
	v_or_b32_e32 v19, 0x900, v0
	v_cmp_gt_u32_e32 vcc, s23, v19
	s_and_saveexec_b64 s[0:1], vcc
	s_cbranch_execz .LBB3_92
; %bb.91:
	v_add_co_u32_e32 v19, vcc, 0x2000, v16
	v_addc_co_u32_e32 v20, vcc, 0, v17, vcc
	s_waitcnt lgkmcnt(3)
	global_store_dword v[19:20], v11, off offset:1024
.LBB3_92:
	s_or_b64 exec, exec, s[0:1]
	v_or_b32_e32 v19, 0xa00, v0
	v_cmp_gt_u32_e32 vcc, s23, v19
	s_and_saveexec_b64 s[0:1], vcc
	s_cbranch_execz .LBB3_94
; %bb.93:
	v_add_co_u32_e32 v19, vcc, 0x2000, v16
	v_addc_co_u32_e32 v20, vcc, 0, v17, vcc
	s_waitcnt lgkmcnt(2)
	global_store_dword v[19:20], v2, off offset:2048
.LBB3_94:
	;; [unrolled: 11-line block ×3, first 2 shown]
	s_or_b64 exec, exec, s[0:1]
	v_or_b32_e32 v19, 0xc00, v0
	v_cmp_gt_u32_e32 vcc, s23, v19
	s_and_saveexec_b64 s[0:1], vcc
	s_cbranch_execz .LBB3_98
; %bb.97:
	v_add_co_u32_e32 v19, vcc, 0x3000, v16
	v_addc_co_u32_e32 v20, vcc, 0, v17, vcc
	s_waitcnt lgkmcnt(1)
	global_store_dword v[19:20], v12, off
.LBB3_98:
	s_or_b64 exec, exec, s[0:1]
	v_or_b32_e32 v19, 0xd00, v0
	v_cmp_gt_u32_e32 vcc, s23, v19
	s_and_saveexec_b64 s[0:1], vcc
	s_cbranch_execz .LBB3_100
; %bb.99:
	v_add_co_u32_e32 v19, vcc, 0x3000, v16
	v_addc_co_u32_e32 v20, vcc, 0, v17, vcc
	s_waitcnt lgkmcnt(1)
	global_store_dword v[19:20], v13, off offset:1024
.LBB3_100:
	s_or_b64 exec, exec, s[0:1]
	v_or_b32_e32 v19, 0xe00, v0
	v_cmp_gt_u32_e32 vcc, s23, v19
	s_and_saveexec_b64 s[0:1], vcc
	s_cbranch_execz .LBB3_102
; %bb.101:
	v_add_co_u32_e32 v16, vcc, 0x3000, v16
	v_addc_co_u32_e32 v17, vcc, 0, v17, vcc
	s_waitcnt lgkmcnt(0)
	global_store_dword v[16:17], v18, off offset:2048
.LBB3_102:
	s_or_b64 exec, exec, s[0:1]
	s_load_dword s0, s[4:5], 0x40
	s_waitcnt lgkmcnt(0)
	s_bfe_u32 s0, s0, 0x10008
	s_cmp_eq_u32 s0, 0
	s_cbranch_scc1 .LBB3_157
; %bb.103:
	s_add_u32 s0, s23, -1
	s_addc_u32 s1, s33, -1
	s_mul_i32 s5, s1, 0x88888889
	s_mul_hi_u32 s6, s0, 0x88888889
	s_mul_hi_u32 s4, s1, 0x88888889
	s_add_u32 s5, s5, s6
	s_mul_i32 s3, s0, 0x88888888
	s_addc_u32 s4, s4, 0
	s_mul_hi_u32 s2, s0, 0x88888888
	s_add_u32 s3, s3, s5
	s_addc_u32 s2, s2, 0
	s_add_u32 s2, s4, s2
	s_addc_u32 s3, 0, 0
	s_mul_i32 s5, s1, 0x88888888
	s_mul_hi_u32 s4, s1, 0x88888888
	s_add_u32 s2, s5, s2
	s_addc_u32 s3, s4, s3
	s_lshr_b64 s[2:3], s[2:3], 3
	v_cmp_eq_u64_e32 vcc, s[2:3], v[0:1]
	s_and_saveexec_b64 s[2:3], vcc
	s_cbranch_execz .LBB3_157
; %bb.104:
	v_mul_hi_u32_u24_e32 v1, 15, v0
	v_mul_u32_u24_e32 v0, 15, v0
	v_mov_b32_e32 v16, s1
	v_sub_co_u32_e32 v0, vcc, s0, v0
	v_subb_co_u32_e32 v1, vcc, v16, v1, vcc
	v_cmp_lt_i64_e32 vcc, 7, v[0:1]
	s_and_saveexec_b64 s[0:1], vcc
	s_xor_b64 s[0:1], exec, s[0:1]
	s_cbranch_execz .LBB3_130
; %bb.105:
	v_cmp_lt_i64_e32 vcc, 10, v[0:1]
	s_and_saveexec_b64 s[2:3], vcc
	s_xor_b64 s[2:3], exec, s[2:3]
	s_cbranch_execz .LBB3_119
; %bb.106:
	v_cmp_lt_i64_e32 vcc, 12, v[0:1]
	s_and_saveexec_b64 s[4:5], vcc
	s_xor_b64 s[4:5], exec, s[4:5]
	s_cbranch_execz .LBB3_112
; %bb.107:
	v_cmp_lt_i64_e32 vcc, 13, v[0:1]
	s_and_saveexec_b64 s[6:7], vcc
	s_xor_b64 s[6:7], exec, s[6:7]
	s_cbranch_execz .LBB3_109
; %bb.108:
	v_mov_b32_e32 v0, 0
	global_store_dword v0, v18, s[10:11]
                                        ; implicit-def: $vgpr12_vgpr13
.LBB3_109:
	s_andn2_saveexec_b64 s[6:7], s[6:7]
	s_cbranch_execz .LBB3_111
; %bb.110:
	v_mov_b32_e32 v0, 0
	global_store_dword v0, v13, s[10:11]
.LBB3_111:
	s_or_b64 exec, exec, s[6:7]
                                        ; implicit-def: $vgpr2_vgpr3
                                        ; implicit-def: $vgpr0_vgpr1
                                        ; implicit-def: $vgpr12_vgpr13
.LBB3_112:
	s_andn2_saveexec_b64 s[4:5], s[4:5]
	s_cbranch_execz .LBB3_118
; %bb.113:
	v_cmp_lt_i64_e32 vcc, 11, v[0:1]
	s_and_saveexec_b64 s[6:7], vcc
	s_xor_b64 s[6:7], exec, s[6:7]
	s_cbranch_execz .LBB3_115
; %bb.114:
	v_mov_b32_e32 v0, 0
	global_store_dword v0, v12, s[10:11]
                                        ; implicit-def: $vgpr2_vgpr3
.LBB3_115:
	s_andn2_saveexec_b64 s[6:7], s[6:7]
	s_cbranch_execz .LBB3_117
; %bb.116:
	v_mov_b32_e32 v0, 0
	global_store_dword v0, v3, s[10:11]
.LBB3_117:
	s_or_b64 exec, exec, s[6:7]
.LBB3_118:
	s_or_b64 exec, exec, s[4:5]
                                        ; implicit-def: $vgpr10_vgpr11
                                        ; implicit-def: $vgpr0_vgpr1
                                        ; implicit-def: $vgpr2_vgpr3
.LBB3_119:
	s_andn2_saveexec_b64 s[2:3], s[2:3]
	s_cbranch_execz .LBB3_129
; %bb.120:
	v_cmp_lt_i64_e32 vcc, 8, v[0:1]
	s_and_saveexec_b64 s[4:5], vcc
	s_xor_b64 s[4:5], exec, s[4:5]
	s_cbranch_execz .LBB3_126
; %bb.121:
	v_cmp_lt_i64_e32 vcc, 9, v[0:1]
	s_and_saveexec_b64 s[6:7], vcc
	s_xor_b64 s[6:7], exec, s[6:7]
	s_cbranch_execz .LBB3_123
; %bb.122:
	v_mov_b32_e32 v0, 0
	global_store_dword v0, v2, s[10:11]
                                        ; implicit-def: $vgpr10_vgpr11
.LBB3_123:
	s_andn2_saveexec_b64 s[6:7], s[6:7]
	s_cbranch_execz .LBB3_125
; %bb.124:
	v_mov_b32_e32 v0, 0
	global_store_dword v0, v11, s[10:11]
.LBB3_125:
	s_or_b64 exec, exec, s[6:7]
                                        ; implicit-def: $vgpr10_vgpr11
.LBB3_126:
	s_andn2_saveexec_b64 s[4:5], s[4:5]
	s_cbranch_execz .LBB3_128
; %bb.127:
	v_mov_b32_e32 v0, 0
	global_store_dword v0, v10, s[10:11]
.LBB3_128:
	s_or_b64 exec, exec, s[4:5]
.LBB3_129:
	s_or_b64 exec, exec, s[2:3]
                                        ; implicit-def: $vgpr0_vgpr1
                                        ; implicit-def: $vgpr4_vgpr5
                                        ; implicit-def: $vgpr6_vgpr7
                                        ; implicit-def: $vgpr8_vgpr9
                                        ; implicit-def: $vgpr14_vgpr15
.LBB3_130:
	s_andn2_saveexec_b64 s[0:1], s[0:1]
	s_cbranch_execz .LBB3_157
; %bb.131:
	v_cmp_lt_i64_e32 vcc, 3, v[0:1]
	s_and_saveexec_b64 s[0:1], vcc
	s_xor_b64 s[0:1], exec, s[0:1]
	s_cbranch_execz .LBB3_145
; %bb.132:
	v_cmp_lt_i64_e32 vcc, 5, v[0:1]
	s_and_saveexec_b64 s[2:3], vcc
	s_xor_b64 s[2:3], exec, s[2:3]
	;; [unrolled: 5-line block ×3, first 2 shown]
	s_cbranch_execz .LBB3_135
; %bb.134:
	v_mov_b32_e32 v0, 0
	global_store_dword v0, v15, s[10:11]
                                        ; implicit-def: $vgpr14_vgpr15
.LBB3_135:
	s_andn2_saveexec_b64 s[4:5], s[4:5]
	s_cbranch_execz .LBB3_137
; %bb.136:
	v_mov_b32_e32 v0, 0
	global_store_dword v0, v14, s[10:11]
.LBB3_137:
	s_or_b64 exec, exec, s[4:5]
                                        ; implicit-def: $vgpr6_vgpr7
                                        ; implicit-def: $vgpr0_vgpr1
.LBB3_138:
	s_andn2_saveexec_b64 s[2:3], s[2:3]
	s_cbranch_execz .LBB3_144
; %bb.139:
	v_cmp_lt_i64_e32 vcc, 4, v[0:1]
	s_and_saveexec_b64 s[4:5], vcc
	s_xor_b64 s[4:5], exec, s[4:5]
	s_cbranch_execz .LBB3_141
; %bb.140:
	v_mov_b32_e32 v0, 0
	global_store_dword v0, v7, s[10:11]
                                        ; implicit-def: $vgpr6_vgpr7
.LBB3_141:
	s_andn2_saveexec_b64 s[4:5], s[4:5]
	s_cbranch_execz .LBB3_143
; %bb.142:
	v_mov_b32_e32 v0, 0
	global_store_dword v0, v6, s[10:11]
.LBB3_143:
	s_or_b64 exec, exec, s[4:5]
.LBB3_144:
	s_or_b64 exec, exec, s[2:3]
                                        ; implicit-def: $vgpr0_vgpr1
                                        ; implicit-def: $vgpr4_vgpr5
                                        ; implicit-def: $vgpr8_vgpr9
.LBB3_145:
	s_andn2_saveexec_b64 s[0:1], s[0:1]
	s_cbranch_execz .LBB3_157
; %bb.146:
	v_cmp_lt_i64_e32 vcc, 1, v[0:1]
	s_and_saveexec_b64 s[0:1], vcc
	s_xor_b64 s[0:1], exec, s[0:1]
	s_cbranch_execz .LBB3_152
; %bb.147:
	v_cmp_lt_i64_e32 vcc, 2, v[0:1]
	s_and_saveexec_b64 s[2:3], vcc
	s_xor_b64 s[2:3], exec, s[2:3]
	s_cbranch_execz .LBB3_149
; %bb.148:
	v_mov_b32_e32 v0, 0
	global_store_dword v0, v9, s[10:11]
                                        ; implicit-def: $vgpr8_vgpr9
.LBB3_149:
	s_andn2_saveexec_b64 s[2:3], s[2:3]
	s_cbranch_execz .LBB3_151
; %bb.150:
	v_mov_b32_e32 v0, 0
	global_store_dword v0, v8, s[10:11]
.LBB3_151:
	s_or_b64 exec, exec, s[2:3]
                                        ; implicit-def: $vgpr4_vgpr5
                                        ; implicit-def: $vgpr0_vgpr1
.LBB3_152:
	s_andn2_saveexec_b64 s[0:1], s[0:1]
	s_cbranch_execz .LBB3_157
; %bb.153:
	v_cmp_ne_u64_e32 vcc, 1, v[0:1]
	s_and_saveexec_b64 s[0:1], vcc
	s_xor_b64 s[0:1], exec, s[0:1]
	s_cbranch_execz .LBB3_155
; %bb.154:
	v_mov_b32_e32 v0, 0
	global_store_dword v0, v4, s[10:11]
                                        ; implicit-def: $vgpr4_vgpr5
.LBB3_155:
	s_andn2_saveexec_b64 s[0:1], s[0:1]
	s_cbranch_execz .LBB3_157
; %bb.156:
	v_mov_b32_e32 v0, 0
	global_store_dword v0, v5, s[10:11]
.LBB3_157:
	s_endpgm
	.section	.rodata,"a",@progbits
	.p2align	6, 0x0
	.amdhsa_kernel _ZN7rocprim17ROCPRIM_304000_NS6detail20lookback_scan_kernelILNS1_25lookback_scan_determinismE0ELb0ENS1_19wrapped_scan_configINS0_14default_configEiEEPKiPiSt4plusIvEiiNS1_19lookback_scan_stateIiLb0ELb1EEEEEvT2_T3_mT5_T4_T7_jPT6_SK_bb
		.amdhsa_group_segment_fixed_size 15360
		.amdhsa_private_segment_fixed_size 0
		.amdhsa_kernarg_size 68
		.amdhsa_user_sgpr_count 6
		.amdhsa_user_sgpr_private_segment_buffer 1
		.amdhsa_user_sgpr_dispatch_ptr 0
		.amdhsa_user_sgpr_queue_ptr 0
		.amdhsa_user_sgpr_kernarg_segment_ptr 1
		.amdhsa_user_sgpr_dispatch_id 0
		.amdhsa_user_sgpr_flat_scratch_init 0
		.amdhsa_user_sgpr_private_segment_size 0
		.amdhsa_uses_dynamic_stack 0
		.amdhsa_system_sgpr_private_segment_wavefront_offset 0
		.amdhsa_system_sgpr_workgroup_id_x 1
		.amdhsa_system_sgpr_workgroup_id_y 0
		.amdhsa_system_sgpr_workgroup_id_z 0
		.amdhsa_system_sgpr_workgroup_info 0
		.amdhsa_system_vgpr_workitem_id 0
		.amdhsa_next_free_vgpr 49
		.amdhsa_next_free_sgpr 98
		.amdhsa_reserve_vcc 1
		.amdhsa_reserve_flat_scratch 0
		.amdhsa_float_round_mode_32 0
		.amdhsa_float_round_mode_16_64 0
		.amdhsa_float_denorm_mode_32 3
		.amdhsa_float_denorm_mode_16_64 3
		.amdhsa_dx10_clamp 1
		.amdhsa_ieee_mode 1
		.amdhsa_fp16_overflow 0
		.amdhsa_exception_fp_ieee_invalid_op 0
		.amdhsa_exception_fp_denorm_src 0
		.amdhsa_exception_fp_ieee_div_zero 0
		.amdhsa_exception_fp_ieee_overflow 0
		.amdhsa_exception_fp_ieee_underflow 0
		.amdhsa_exception_fp_ieee_inexact 0
		.amdhsa_exception_int_div_zero 0
	.end_amdhsa_kernel
	.section	.text._ZN7rocprim17ROCPRIM_304000_NS6detail20lookback_scan_kernelILNS1_25lookback_scan_determinismE0ELb0ENS1_19wrapped_scan_configINS0_14default_configEiEEPKiPiSt4plusIvEiiNS1_19lookback_scan_stateIiLb0ELb1EEEEEvT2_T3_mT5_T4_T7_jPT6_SK_bb,"axG",@progbits,_ZN7rocprim17ROCPRIM_304000_NS6detail20lookback_scan_kernelILNS1_25lookback_scan_determinismE0ELb0ENS1_19wrapped_scan_configINS0_14default_configEiEEPKiPiSt4plusIvEiiNS1_19lookback_scan_stateIiLb0ELb1EEEEEvT2_T3_mT5_T4_T7_jPT6_SK_bb,comdat
.Lfunc_end3:
	.size	_ZN7rocprim17ROCPRIM_304000_NS6detail20lookback_scan_kernelILNS1_25lookback_scan_determinismE0ELb0ENS1_19wrapped_scan_configINS0_14default_configEiEEPKiPiSt4plusIvEiiNS1_19lookback_scan_stateIiLb0ELb1EEEEEvT2_T3_mT5_T4_T7_jPT6_SK_bb, .Lfunc_end3-_ZN7rocprim17ROCPRIM_304000_NS6detail20lookback_scan_kernelILNS1_25lookback_scan_determinismE0ELb0ENS1_19wrapped_scan_configINS0_14default_configEiEEPKiPiSt4plusIvEiiNS1_19lookback_scan_stateIiLb0ELb1EEEEEvT2_T3_mT5_T4_T7_jPT6_SK_bb
                                        ; -- End function
	.set _ZN7rocprim17ROCPRIM_304000_NS6detail20lookback_scan_kernelILNS1_25lookback_scan_determinismE0ELb0ENS1_19wrapped_scan_configINS0_14default_configEiEEPKiPiSt4plusIvEiiNS1_19lookback_scan_stateIiLb0ELb1EEEEEvT2_T3_mT5_T4_T7_jPT6_SK_bb.num_vgpr, 44
	.set _ZN7rocprim17ROCPRIM_304000_NS6detail20lookback_scan_kernelILNS1_25lookback_scan_determinismE0ELb0ENS1_19wrapped_scan_configINS0_14default_configEiEEPKiPiSt4plusIvEiiNS1_19lookback_scan_stateIiLb0ELb1EEEEEvT2_T3_mT5_T4_T7_jPT6_SK_bb.num_agpr, 0
	.set _ZN7rocprim17ROCPRIM_304000_NS6detail20lookback_scan_kernelILNS1_25lookback_scan_determinismE0ELb0ENS1_19wrapped_scan_configINS0_14default_configEiEEPKiPiSt4plusIvEiiNS1_19lookback_scan_stateIiLb0ELb1EEEEEvT2_T3_mT5_T4_T7_jPT6_SK_bb.numbered_sgpr, 34
	.set _ZN7rocprim17ROCPRIM_304000_NS6detail20lookback_scan_kernelILNS1_25lookback_scan_determinismE0ELb0ENS1_19wrapped_scan_configINS0_14default_configEiEEPKiPiSt4plusIvEiiNS1_19lookback_scan_stateIiLb0ELb1EEEEEvT2_T3_mT5_T4_T7_jPT6_SK_bb.num_named_barrier, 0
	.set _ZN7rocprim17ROCPRIM_304000_NS6detail20lookback_scan_kernelILNS1_25lookback_scan_determinismE0ELb0ENS1_19wrapped_scan_configINS0_14default_configEiEEPKiPiSt4plusIvEiiNS1_19lookback_scan_stateIiLb0ELb1EEEEEvT2_T3_mT5_T4_T7_jPT6_SK_bb.private_seg_size, 0
	.set _ZN7rocprim17ROCPRIM_304000_NS6detail20lookback_scan_kernelILNS1_25lookback_scan_determinismE0ELb0ENS1_19wrapped_scan_configINS0_14default_configEiEEPKiPiSt4plusIvEiiNS1_19lookback_scan_stateIiLb0ELb1EEEEEvT2_T3_mT5_T4_T7_jPT6_SK_bb.uses_vcc, 1
	.set _ZN7rocprim17ROCPRIM_304000_NS6detail20lookback_scan_kernelILNS1_25lookback_scan_determinismE0ELb0ENS1_19wrapped_scan_configINS0_14default_configEiEEPKiPiSt4plusIvEiiNS1_19lookback_scan_stateIiLb0ELb1EEEEEvT2_T3_mT5_T4_T7_jPT6_SK_bb.uses_flat_scratch, 0
	.set _ZN7rocprim17ROCPRIM_304000_NS6detail20lookback_scan_kernelILNS1_25lookback_scan_determinismE0ELb0ENS1_19wrapped_scan_configINS0_14default_configEiEEPKiPiSt4plusIvEiiNS1_19lookback_scan_stateIiLb0ELb1EEEEEvT2_T3_mT5_T4_T7_jPT6_SK_bb.has_dyn_sized_stack, 0
	.set _ZN7rocprim17ROCPRIM_304000_NS6detail20lookback_scan_kernelILNS1_25lookback_scan_determinismE0ELb0ENS1_19wrapped_scan_configINS0_14default_configEiEEPKiPiSt4plusIvEiiNS1_19lookback_scan_stateIiLb0ELb1EEEEEvT2_T3_mT5_T4_T7_jPT6_SK_bb.has_recursion, 0
	.set _ZN7rocprim17ROCPRIM_304000_NS6detail20lookback_scan_kernelILNS1_25lookback_scan_determinismE0ELb0ENS1_19wrapped_scan_configINS0_14default_configEiEEPKiPiSt4plusIvEiiNS1_19lookback_scan_stateIiLb0ELb1EEEEEvT2_T3_mT5_T4_T7_jPT6_SK_bb.has_indirect_call, 0
	.section	.AMDGPU.csdata,"",@progbits
; Kernel info:
; codeLenInByte = 5572
; TotalNumSgprs: 38
; NumVgprs: 44
; ScratchSize: 0
; MemoryBound: 0
; FloatMode: 240
; IeeeMode: 1
; LDSByteSize: 15360 bytes/workgroup (compile time only)
; SGPRBlocks: 12
; VGPRBlocks: 12
; NumSGPRsForWavesPerEU: 102
; NumVGPRsForWavesPerEU: 49
; Occupancy: 4
; WaveLimiterHint : 1
; COMPUTE_PGM_RSRC2:SCRATCH_EN: 0
; COMPUTE_PGM_RSRC2:USER_SGPR: 6
; COMPUTE_PGM_RSRC2:TRAP_HANDLER: 0
; COMPUTE_PGM_RSRC2:TGID_X_EN: 1
; COMPUTE_PGM_RSRC2:TGID_Y_EN: 0
; COMPUTE_PGM_RSRC2:TGID_Z_EN: 0
; COMPUTE_PGM_RSRC2:TIDIG_COMP_CNT: 0
	.section	.text._ZN7rocprim17ROCPRIM_304000_NS6detail16transform_kernelINS1_24wrapped_transform_configINS0_14default_configEiEEiPiS6_NS0_8identityIiEEEEvT1_mT2_T3_,"axG",@progbits,_ZN7rocprim17ROCPRIM_304000_NS6detail16transform_kernelINS1_24wrapped_transform_configINS0_14default_configEiEEiPiS6_NS0_8identityIiEEEEvT1_mT2_T3_,comdat
	.protected	_ZN7rocprim17ROCPRIM_304000_NS6detail16transform_kernelINS1_24wrapped_transform_configINS0_14default_configEiEEiPiS6_NS0_8identityIiEEEEvT1_mT2_T3_ ; -- Begin function _ZN7rocprim17ROCPRIM_304000_NS6detail16transform_kernelINS1_24wrapped_transform_configINS0_14default_configEiEEiPiS6_NS0_8identityIiEEEEvT1_mT2_T3_
	.globl	_ZN7rocprim17ROCPRIM_304000_NS6detail16transform_kernelINS1_24wrapped_transform_configINS0_14default_configEiEEiPiS6_NS0_8identityIiEEEEvT1_mT2_T3_
	.p2align	8
	.type	_ZN7rocprim17ROCPRIM_304000_NS6detail16transform_kernelINS1_24wrapped_transform_configINS0_14default_configEiEEiPiS6_NS0_8identityIiEEEEvT1_mT2_T3_,@function
_ZN7rocprim17ROCPRIM_304000_NS6detail16transform_kernelINS1_24wrapped_transform_configINS0_14default_configEiEEiPiS6_NS0_8identityIiEEEEvT1_mT2_T3_: ; @_ZN7rocprim17ROCPRIM_304000_NS6detail16transform_kernelINS1_24wrapped_transform_configINS0_14default_configEiEEiPiS6_NS0_8identityIiEEEEvT1_mT2_T3_
; %bb.0:
	s_load_dword s7, s[4:5], 0x20
	s_load_dwordx4 s[0:3], s[4:5], 0x0
	s_load_dwordx2 s[8:9], s[4:5], 0x10
	s_lshl_b32 s10, s6, 11
	s_mov_b32 s11, 0
	s_waitcnt lgkmcnt(0)
	s_add_i32 s7, s7, -1
	s_lshl_b64 s[4:5], s[10:11], 2
	s_add_u32 s0, s0, s4
	s_addc_u32 s1, s1, s5
	v_lshlrev_b32_e32 v5, 2, v0
	v_mov_b32_e32 v2, s1
	v_add_co_u32_e32 v1, vcc, s0, v5
	s_cmp_lg_u32 s6, s7
	v_addc_co_u32_e32 v2, vcc, 0, v2, vcc
	s_cbranch_scc0 .LBB4_2
; %bb.1:
	v_add_co_u32_e32 v3, vcc, 0x1000, v1
	global_load_dword v6, v[1:2], off
	v_addc_co_u32_e32 v4, vcc, 0, v2, vcc
	global_load_dword v3, v[3:4], off
	s_add_u32 s0, s8, s4
	s_addc_u32 s1, s9, s5
	s_mov_b64 s[6:7], -1
	s_waitcnt vmcnt(1)
	global_store_dword v5, v6, s[0:1]
	s_cbranch_execz .LBB4_3
	s_branch .LBB4_10
.LBB4_2:
	s_mov_b64 s[6:7], 0
                                        ; implicit-def: $vgpr3
.LBB4_3:
	s_sub_i32 s10, s2, s10
	s_waitcnt vmcnt(1)
	v_mov_b32_e32 v3, 0
	v_cmp_gt_u32_e64 s[0:1], s10, v0
	v_mov_b32_e32 v4, v3
	s_and_saveexec_b64 s[2:3], s[0:1]
	s_cbranch_execz .LBB4_5
; %bb.4:
	global_load_dword v6, v[1:2], off
	v_mov_b32_e32 v7, v3
	s_waitcnt vmcnt(0)
	v_mov_b32_e32 v3, v6
	v_mov_b32_e32 v4, v7
.LBB4_5:
	s_or_b64 exec, exec, s[2:3]
	v_or_b32_e32 v0, 0x400, v0
	v_cmp_gt_u32_e64 s[2:3], s10, v0
	s_and_saveexec_b64 s[10:11], s[2:3]
	s_cbranch_execnz .LBB4_13
; %bb.6:
	s_or_b64 exec, exec, s[10:11]
	v_cndmask_b32_e64 v0, 0, v3, s[0:1]
	s_and_saveexec_b64 s[10:11], s[0:1]
	s_cbranch_execnz .LBB4_14
.LBB4_7:
	s_or_b64 exec, exec, s[10:11]
                                        ; implicit-def: $vgpr3
	s_and_saveexec_b64 s[0:1], s[2:3]
	s_cbranch_execz .LBB4_9
.LBB4_8:
	s_waitcnt vmcnt(0)
	v_cndmask_b32_e64 v3, 0, v4, s[2:3]
	s_or_b64 s[6:7], s[6:7], exec
.LBB4_9:
	s_or_b64 exec, exec, s[0:1]
.LBB4_10:
	s_and_saveexec_b64 s[0:1], s[6:7]
	s_cbranch_execnz .LBB4_12
; %bb.11:
	s_endpgm
.LBB4_12:
	s_add_u32 s0, s8, s4
	s_addc_u32 s1, s9, s5
	v_mov_b32_e32 v0, s1
	v_add_co_u32_e32 v1, vcc, s0, v5
	v_addc_co_u32_e32 v2, vcc, 0, v0, vcc
	v_add_co_u32_e32 v0, vcc, 0x1000, v1
	v_addc_co_u32_e32 v1, vcc, 0, v2, vcc
	s_waitcnt vmcnt(1)
	global_store_dword v[0:1], v3, off
	s_endpgm
.LBB4_13:
	v_add_co_u32_e32 v0, vcc, 0x1000, v1
	v_addc_co_u32_e32 v1, vcc, 0, v2, vcc
	global_load_dword v4, v[0:1], off
	s_or_b64 exec, exec, s[10:11]
	v_cndmask_b32_e64 v0, 0, v3, s[0:1]
	s_and_saveexec_b64 s[10:11], s[0:1]
	s_cbranch_execz .LBB4_7
.LBB4_14:
	s_add_u32 s0, s8, s4
	s_addc_u32 s1, s9, s5
	global_store_dword v5, v0, s[0:1]
	s_or_b64 exec, exec, s[10:11]
                                        ; implicit-def: $vgpr3
	s_and_saveexec_b64 s[0:1], s[2:3]
	s_cbranch_execnz .LBB4_8
	s_branch .LBB4_9
	.section	.rodata,"a",@progbits
	.p2align	6, 0x0
	.amdhsa_kernel _ZN7rocprim17ROCPRIM_304000_NS6detail16transform_kernelINS1_24wrapped_transform_configINS0_14default_configEiEEiPiS6_NS0_8identityIiEEEEvT1_mT2_T3_
		.amdhsa_group_segment_fixed_size 0
		.amdhsa_private_segment_fixed_size 0
		.amdhsa_kernarg_size 288
		.amdhsa_user_sgpr_count 6
		.amdhsa_user_sgpr_private_segment_buffer 1
		.amdhsa_user_sgpr_dispatch_ptr 0
		.amdhsa_user_sgpr_queue_ptr 0
		.amdhsa_user_sgpr_kernarg_segment_ptr 1
		.amdhsa_user_sgpr_dispatch_id 0
		.amdhsa_user_sgpr_flat_scratch_init 0
		.amdhsa_user_sgpr_private_segment_size 0
		.amdhsa_uses_dynamic_stack 0
		.amdhsa_system_sgpr_private_segment_wavefront_offset 0
		.amdhsa_system_sgpr_workgroup_id_x 1
		.amdhsa_system_sgpr_workgroup_id_y 0
		.amdhsa_system_sgpr_workgroup_id_z 0
		.amdhsa_system_sgpr_workgroup_info 0
		.amdhsa_system_vgpr_workitem_id 0
		.amdhsa_next_free_vgpr 8
		.amdhsa_next_free_sgpr 12
		.amdhsa_reserve_vcc 1
		.amdhsa_reserve_flat_scratch 0
		.amdhsa_float_round_mode_32 0
		.amdhsa_float_round_mode_16_64 0
		.amdhsa_float_denorm_mode_32 3
		.amdhsa_float_denorm_mode_16_64 3
		.amdhsa_dx10_clamp 1
		.amdhsa_ieee_mode 1
		.amdhsa_fp16_overflow 0
		.amdhsa_exception_fp_ieee_invalid_op 0
		.amdhsa_exception_fp_denorm_src 0
		.amdhsa_exception_fp_ieee_div_zero 0
		.amdhsa_exception_fp_ieee_overflow 0
		.amdhsa_exception_fp_ieee_underflow 0
		.amdhsa_exception_fp_ieee_inexact 0
		.amdhsa_exception_int_div_zero 0
	.end_amdhsa_kernel
	.section	.text._ZN7rocprim17ROCPRIM_304000_NS6detail16transform_kernelINS1_24wrapped_transform_configINS0_14default_configEiEEiPiS6_NS0_8identityIiEEEEvT1_mT2_T3_,"axG",@progbits,_ZN7rocprim17ROCPRIM_304000_NS6detail16transform_kernelINS1_24wrapped_transform_configINS0_14default_configEiEEiPiS6_NS0_8identityIiEEEEvT1_mT2_T3_,comdat
.Lfunc_end4:
	.size	_ZN7rocprim17ROCPRIM_304000_NS6detail16transform_kernelINS1_24wrapped_transform_configINS0_14default_configEiEEiPiS6_NS0_8identityIiEEEEvT1_mT2_T3_, .Lfunc_end4-_ZN7rocprim17ROCPRIM_304000_NS6detail16transform_kernelINS1_24wrapped_transform_configINS0_14default_configEiEEiPiS6_NS0_8identityIiEEEEvT1_mT2_T3_
                                        ; -- End function
	.set _ZN7rocprim17ROCPRIM_304000_NS6detail16transform_kernelINS1_24wrapped_transform_configINS0_14default_configEiEEiPiS6_NS0_8identityIiEEEEvT1_mT2_T3_.num_vgpr, 8
	.set _ZN7rocprim17ROCPRIM_304000_NS6detail16transform_kernelINS1_24wrapped_transform_configINS0_14default_configEiEEiPiS6_NS0_8identityIiEEEEvT1_mT2_T3_.num_agpr, 0
	.set _ZN7rocprim17ROCPRIM_304000_NS6detail16transform_kernelINS1_24wrapped_transform_configINS0_14default_configEiEEiPiS6_NS0_8identityIiEEEEvT1_mT2_T3_.numbered_sgpr, 12
	.set _ZN7rocprim17ROCPRIM_304000_NS6detail16transform_kernelINS1_24wrapped_transform_configINS0_14default_configEiEEiPiS6_NS0_8identityIiEEEEvT1_mT2_T3_.num_named_barrier, 0
	.set _ZN7rocprim17ROCPRIM_304000_NS6detail16transform_kernelINS1_24wrapped_transform_configINS0_14default_configEiEEiPiS6_NS0_8identityIiEEEEvT1_mT2_T3_.private_seg_size, 0
	.set _ZN7rocprim17ROCPRIM_304000_NS6detail16transform_kernelINS1_24wrapped_transform_configINS0_14default_configEiEEiPiS6_NS0_8identityIiEEEEvT1_mT2_T3_.uses_vcc, 1
	.set _ZN7rocprim17ROCPRIM_304000_NS6detail16transform_kernelINS1_24wrapped_transform_configINS0_14default_configEiEEiPiS6_NS0_8identityIiEEEEvT1_mT2_T3_.uses_flat_scratch, 0
	.set _ZN7rocprim17ROCPRIM_304000_NS6detail16transform_kernelINS1_24wrapped_transform_configINS0_14default_configEiEEiPiS6_NS0_8identityIiEEEEvT1_mT2_T3_.has_dyn_sized_stack, 0
	.set _ZN7rocprim17ROCPRIM_304000_NS6detail16transform_kernelINS1_24wrapped_transform_configINS0_14default_configEiEEiPiS6_NS0_8identityIiEEEEvT1_mT2_T3_.has_recursion, 0
	.set _ZN7rocprim17ROCPRIM_304000_NS6detail16transform_kernelINS1_24wrapped_transform_configINS0_14default_configEiEEiPiS6_NS0_8identityIiEEEEvT1_mT2_T3_.has_indirect_call, 0
	.section	.AMDGPU.csdata,"",@progbits
; Kernel info:
; codeLenInByte = 408
; TotalNumSgprs: 16
; NumVgprs: 8
; ScratchSize: 0
; MemoryBound: 0
; FloatMode: 240
; IeeeMode: 1
; LDSByteSize: 0 bytes/workgroup (compile time only)
; SGPRBlocks: 1
; VGPRBlocks: 1
; NumSGPRsForWavesPerEU: 16
; NumVGPRsForWavesPerEU: 8
; Occupancy: 10
; WaveLimiterHint : 1
; COMPUTE_PGM_RSRC2:SCRATCH_EN: 0
; COMPUTE_PGM_RSRC2:USER_SGPR: 6
; COMPUTE_PGM_RSRC2:TRAP_HANDLER: 0
; COMPUTE_PGM_RSRC2:TGID_X_EN: 1
; COMPUTE_PGM_RSRC2:TGID_Y_EN: 0
; COMPUTE_PGM_RSRC2:TGID_Z_EN: 0
; COMPUTE_PGM_RSRC2:TIDIG_COMP_CNT: 0
	.section	.text._ZN7rocprim17ROCPRIM_304000_NS6detail18single_scan_kernelILb0ENS1_19wrapped_scan_configINS0_14default_configEiEEPKiPiSt4plusIvEiiEEvT1_mT4_T2_T3_,"axG",@progbits,_ZN7rocprim17ROCPRIM_304000_NS6detail18single_scan_kernelILb0ENS1_19wrapped_scan_configINS0_14default_configEiEEPKiPiSt4plusIvEiiEEvT1_mT4_T2_T3_,comdat
	.protected	_ZN7rocprim17ROCPRIM_304000_NS6detail18single_scan_kernelILb0ENS1_19wrapped_scan_configINS0_14default_configEiEEPKiPiSt4plusIvEiiEEvT1_mT4_T2_T3_ ; -- Begin function _ZN7rocprim17ROCPRIM_304000_NS6detail18single_scan_kernelILb0ENS1_19wrapped_scan_configINS0_14default_configEiEEPKiPiSt4plusIvEiiEEvT1_mT4_T2_T3_
	.globl	_ZN7rocprim17ROCPRIM_304000_NS6detail18single_scan_kernelILb0ENS1_19wrapped_scan_configINS0_14default_configEiEEPKiPiSt4plusIvEiiEEvT1_mT4_T2_T3_
	.p2align	8
	.type	_ZN7rocprim17ROCPRIM_304000_NS6detail18single_scan_kernelILb0ENS1_19wrapped_scan_configINS0_14default_configEiEEPKiPiSt4plusIvEiiEEvT1_mT4_T2_T3_,@function
_ZN7rocprim17ROCPRIM_304000_NS6detail18single_scan_kernelILb0ENS1_19wrapped_scan_configINS0_14default_configEiEEPKiPiSt4plusIvEiiEEvT1_mT4_T2_T3_: ; @_ZN7rocprim17ROCPRIM_304000_NS6detail18single_scan_kernelILb0ENS1_19wrapped_scan_configINS0_14default_configEiEEPKiPiSt4plusIvEiiEEvT1_mT4_T2_T3_
; %bb.0:
	s_load_dwordx4 s[28:31], s[4:5], 0x0
	v_lshlrev_b32_e32 v19, 2, v0
	s_waitcnt lgkmcnt(0)
	s_load_dword s8, s[28:29], 0x0
	v_mov_b32_e32 v1, s29
	v_add_co_u32_e32 v17, vcc, s28, v19
	v_addc_co_u32_e32 v18, vcc, 0, v1, vcc
	s_waitcnt lgkmcnt(0)
	s_mov_b32 s9, s8
	s_mov_b32 s10, s8
	;; [unrolled: 1-line block ×14, first 2 shown]
	v_mov_b32_e32 v1, s8
	v_cmp_gt_u32_e64 s[0:1], s30, v0
	v_mov_b32_e32 v2, s9
	v_mov_b32_e32 v3, s10
	;; [unrolled: 1-line block ×15, first 2 shown]
	s_and_saveexec_b64 s[2:3], s[0:1]
	s_cbranch_execz .LBB5_2
; %bb.1:
	global_load_dword v1, v[17:18], off
	v_mov_b32_e32 v2, s8
	v_mov_b32_e32 v3, s8
	;; [unrolled: 1-line block ×14, first 2 shown]
.LBB5_2:
	s_or_b64 exec, exec, s[2:3]
	v_or_b32_e32 v16, 0x100, v0
	v_cmp_gt_u32_e64 s[2:3], s30, v16
	s_and_saveexec_b64 s[6:7], s[2:3]
	s_cbranch_execz .LBB5_4
; %bb.3:
	global_load_dword v2, v[17:18], off offset:1024
.LBB5_4:
	s_or_b64 exec, exec, s[6:7]
	v_or_b32_e32 v16, 0x200, v0
	v_cmp_gt_u32_e64 s[6:7], s30, v16
	s_and_saveexec_b64 s[8:9], s[6:7]
	s_cbranch_execz .LBB5_6
; %bb.5:
	global_load_dword v3, v[17:18], off offset:2048
.LBB5_6:
	;; [unrolled: 8-line block ×3, first 2 shown]
	s_or_b64 exec, exec, s[10:11]
	v_or_b32_e32 v16, 0x400, v0
	v_cmp_gt_u32_e64 s[10:11], s30, v16
	s_and_saveexec_b64 s[12:13], s[10:11]
	s_cbranch_execz .LBB5_10
; %bb.9:
	v_add_co_u32_e32 v20, vcc, 0x1000, v17
	v_addc_co_u32_e32 v21, vcc, 0, v18, vcc
	global_load_dword v5, v[20:21], off
.LBB5_10:
	s_or_b64 exec, exec, s[12:13]
	v_or_b32_e32 v16, 0x500, v0
	v_cmp_gt_u32_e64 s[12:13], s30, v16
	s_and_saveexec_b64 s[14:15], s[12:13]
	s_cbranch_execz .LBB5_12
; %bb.11:
	v_add_co_u32_e32 v20, vcc, 0x1000, v17
	v_addc_co_u32_e32 v21, vcc, 0, v18, vcc
	global_load_dword v6, v[20:21], off offset:1024
.LBB5_12:
	s_or_b64 exec, exec, s[14:15]
	v_or_b32_e32 v16, 0x600, v0
	v_cmp_gt_u32_e64 s[14:15], s30, v16
	s_and_saveexec_b64 s[16:17], s[14:15]
	s_cbranch_execz .LBB5_14
; %bb.13:
	v_add_co_u32_e32 v20, vcc, 0x1000, v17
	v_addc_co_u32_e32 v21, vcc, 0, v18, vcc
	global_load_dword v7, v[20:21], off offset:2048
.LBB5_14:
	;; [unrolled: 10-line block ×3, first 2 shown]
	s_or_b64 exec, exec, s[18:19]
	v_or_b32_e32 v16, 0x800, v0
	v_cmp_gt_u32_e64 s[18:19], s30, v16
	s_and_saveexec_b64 s[20:21], s[18:19]
	s_cbranch_execz .LBB5_18
; %bb.17:
	v_add_co_u32_e32 v20, vcc, 0x2000, v17
	v_addc_co_u32_e32 v21, vcc, 0, v18, vcc
	global_load_dword v9, v[20:21], off
.LBB5_18:
	s_or_b64 exec, exec, s[20:21]
	v_or_b32_e32 v16, 0x900, v0
	v_cmp_gt_u32_e64 s[20:21], s30, v16
	s_and_saveexec_b64 s[22:23], s[20:21]
	s_cbranch_execz .LBB5_20
; %bb.19:
	v_add_co_u32_e32 v20, vcc, 0x2000, v17
	v_addc_co_u32_e32 v21, vcc, 0, v18, vcc
	global_load_dword v10, v[20:21], off offset:1024
.LBB5_20:
	s_or_b64 exec, exec, s[22:23]
	v_or_b32_e32 v16, 0xa00, v0
	v_cmp_gt_u32_e64 s[22:23], s30, v16
	s_and_saveexec_b64 s[24:25], s[22:23]
	s_cbranch_execz .LBB5_22
; %bb.21:
	v_add_co_u32_e32 v20, vcc, 0x2000, v17
	v_addc_co_u32_e32 v21, vcc, 0, v18, vcc
	global_load_dword v11, v[20:21], off offset:2048
.LBB5_22:
	;; [unrolled: 10-line block ×3, first 2 shown]
	s_or_b64 exec, exec, s[26:27]
	v_or_b32_e32 v16, 0xc00, v0
	v_cmp_gt_u32_e64 s[26:27], s30, v16
	s_and_saveexec_b64 s[28:29], s[26:27]
	s_cbranch_execz .LBB5_26
; %bb.25:
	v_add_co_u32_e32 v20, vcc, 0x3000, v17
	v_addc_co_u32_e32 v21, vcc, 0, v18, vcc
	global_load_dword v13, v[20:21], off
.LBB5_26:
	s_or_b64 exec, exec, s[28:29]
	v_or_b32_e32 v16, 0xd00, v0
	v_cmp_gt_u32_e64 s[28:29], s30, v16
	s_and_saveexec_b64 s[34:35], s[28:29]
	s_cbranch_execz .LBB5_28
; %bb.27:
	v_add_co_u32_e32 v20, vcc, 0x3000, v17
	v_addc_co_u32_e32 v21, vcc, 0, v18, vcc
	global_load_dword v14, v[20:21], off offset:1024
.LBB5_28:
	s_or_b64 exec, exec, s[34:35]
	v_or_b32_e32 v16, 0xe00, v0
	v_cmp_gt_u32_e64 s[30:31], s30, v16
	s_and_saveexec_b64 s[34:35], s[30:31]
	s_cbranch_execz .LBB5_30
; %bb.29:
	v_add_co_u32_e32 v15, vcc, 0x3000, v17
	v_addc_co_u32_e32 v16, vcc, 0, v18, vcc
	global_load_dword v15, v[15:16], off offset:2048
.LBB5_30:
	s_or_b64 exec, exec, s[34:35]
	s_waitcnt vmcnt(0)
	ds_write2st64_b32 v19, v1, v2 offset1:4
	ds_write2st64_b32 v19, v3, v4 offset0:8 offset1:12
	ds_write2st64_b32 v19, v5, v6 offset0:16 offset1:20
	;; [unrolled: 1-line block ×6, first 2 shown]
	ds_write_b32 v19, v15 offset:14336
	v_mad_u32_u24 v15, v0, 56, v19
	s_waitcnt lgkmcnt(0)
	s_barrier
	ds_read2_b32 v[1:2], v15 offset1:1
	ds_read2_b32 v[13:14], v15 offset0:2 offset1:3
	ds_read2_b32 v[11:12], v15 offset0:4 offset1:5
	;; [unrolled: 1-line block ×6, first 2 shown]
	ds_read_b32 v30, v15 offset:56
	s_waitcnt lgkmcnt(7)
	v_add_u32_e32 v15, v2, v1
	s_waitcnt lgkmcnt(6)
	v_add_u32_e32 v16, v15, v13
	v_add_u32_e32 v17, v16, v14
	s_waitcnt lgkmcnt(5)
	v_add_u32_e32 v18, v17, v11
	;; [unrolled: 3-line block ×6, first 2 shown]
	v_lshrrev_b32_e32 v31, 3, v0
	v_add_u32_e32 v28, v27, v4
	v_and_b32_e32 v31, 28, v31
	s_waitcnt lgkmcnt(0)
	v_add_u32_e32 v29, v28, v30
	v_add_u32_e32 v31, v19, v31
	v_cmp_gt_u32_e32 vcc, 64, v0
	s_barrier
	ds_write_b32 v31, v29
	s_waitcnt lgkmcnt(0)
	s_barrier
	s_and_saveexec_b64 s[34:35], vcc
	s_cbranch_execz .LBB5_32
; %bb.31:
	v_lshrrev_b32_e32 v31, 1, v0
	v_and_b32_e32 v31, 0x7c, v31
	v_lshl_add_u32 v35, v0, 4, v31
	ds_read2_b32 v[31:32], v35 offset1:1
	ds_read2_b32 v[33:34], v35 offset0:2 offset1:3
	v_mbcnt_lo_u32_b32 v36, -1, 0
	v_mbcnt_hi_u32_b32 v36, -1, v36
	v_and_b32_e32 v37, 15, v36
	s_waitcnt lgkmcnt(1)
	v_add_u32_e32 v38, v32, v31
	s_waitcnt lgkmcnt(0)
	v_add3_u32 v38, v38, v33, v34
	v_cmp_ne_u32_e32 vcc, 0, v37
	s_nop 0
	v_mov_b32_dpp v39, v38 row_shr:1 row_mask:0xf bank_mask:0xf
	v_cndmask_b32_e32 v39, 0, v39, vcc
	v_add_u32_e32 v38, v39, v38
	v_cmp_lt_u32_e32 vcc, 1, v37
	s_nop 0
	v_mov_b32_dpp v39, v38 row_shr:2 row_mask:0xf bank_mask:0xf
	v_cndmask_b32_e32 v39, 0, v39, vcc
	v_add_u32_e32 v38, v38, v39
	v_cmp_lt_u32_e32 vcc, 3, v37
	;; [unrolled: 5-line block ×3, first 2 shown]
	s_nop 0
	v_mov_b32_dpp v39, v38 row_shr:8 row_mask:0xf bank_mask:0xf
	v_cndmask_b32_e32 v37, 0, v39, vcc
	v_add_u32_e32 v37, v38, v37
	v_bfe_i32 v39, v36, 4, 1
	v_cmp_lt_u32_e32 vcc, 31, v36
	v_mov_b32_dpp v38, v37 row_bcast:15 row_mask:0xf bank_mask:0xf
	v_and_b32_e32 v38, v39, v38
	v_add_u32_e32 v37, v37, v38
	v_and_b32_e32 v39, 64, v36
	s_nop 0
	v_mov_b32_dpp v38, v37 row_bcast:31 row_mask:0xf bank_mask:0xf
	v_cndmask_b32_e32 v38, 0, v38, vcc
	v_add_u32_e32 v37, v37, v38
	v_add_u32_e32 v38, -1, v36
	v_cmp_lt_i32_e32 vcc, v38, v39
	v_cndmask_b32_e32 v36, v38, v36, vcc
	v_lshlrev_b32_e32 v36, 2, v36
	ds_bpermute_b32 v36, v36, v37
	v_cmp_eq_u32_e32 vcc, 0, v0
	s_waitcnt lgkmcnt(0)
	v_add_u32_e32 v31, v36, v31
	v_cndmask_b32_e32 v31, v31, v29, vcc
	v_add_u32_e32 v32, v31, v32
	ds_write2_b32 v35, v31, v32 offset1:1
	v_add_u32_e32 v31, v32, v33
	v_add_u32_e32 v32, v31, v34
	ds_write2_b32 v35, v31, v32 offset0:2 offset1:3
.LBB5_32:
	s_or_b64 exec, exec, s[34:35]
	v_mul_u32_u24_e32 v31, 56, v0
	v_cmp_ne_u32_e32 vcc, 0, v0
	s_waitcnt lgkmcnt(0)
	s_barrier
	s_and_saveexec_b64 s[34:35], vcc
	s_cbranch_execz .LBB5_34
; %bb.33:
	v_add_u32_e32 v0, -1, v0
	v_lshrrev_b32_e32 v15, 3, v0
	v_and_b32_e32 v15, 0x1ffffffc, v15
	v_lshl_add_u32 v0, v0, 2, v15
	ds_read_b32 v0, v0
	s_waitcnt lgkmcnt(0)
	v_add_u32_e32 v1, v0, v1
	v_add_u32_e32 v15, v1, v2
	;; [unrolled: 1-line block ×15, first 2 shown]
.LBB5_34:
	s_or_b64 exec, exec, s[34:35]
	v_add_u32_e32 v0, v19, v31
	s_barrier
	ds_write2_b32 v0, v1, v15 offset1:1
	ds_write2_b32 v0, v16, v17 offset0:2 offset1:3
	ds_write2_b32 v0, v18, v20 offset0:4 offset1:5
	;; [unrolled: 1-line block ×6, first 2 shown]
	ds_write_b32 v0, v29 offset:56
	s_waitcnt lgkmcnt(0)
	s_barrier
	ds_read2st64_b32 v[14:15], v19 offset0:4 offset1:8
	ds_read2st64_b32 v[12:13], v19 offset0:12 offset1:16
	;; [unrolled: 1-line block ×7, first 2 shown]
	s_load_dwordx2 s[4:5], s[4:5], 0x18
	s_waitcnt lgkmcnt(0)
	v_mov_b32_e32 v3, s5
	v_add_co_u32_e32 v2, vcc, s4, v19
	v_addc_co_u32_e32 v3, vcc, 0, v3, vcc
	s_and_saveexec_b64 s[4:5], s[0:1]
	s_cbranch_execnz .LBB5_50
; %bb.35:
	s_or_b64 exec, exec, s[4:5]
	s_and_saveexec_b64 s[0:1], s[2:3]
	s_cbranch_execnz .LBB5_51
.LBB5_36:
	s_or_b64 exec, exec, s[0:1]
	s_and_saveexec_b64 s[0:1], s[6:7]
	s_cbranch_execnz .LBB5_52
.LBB5_37:
	s_or_b64 exec, exec, s[0:1]
	s_and_saveexec_b64 s[0:1], s[8:9]
	s_cbranch_execnz .LBB5_53
.LBB5_38:
	s_or_b64 exec, exec, s[0:1]
	s_and_saveexec_b64 s[0:1], s[10:11]
	s_cbranch_execnz .LBB5_54
.LBB5_39:
	s_or_b64 exec, exec, s[0:1]
	s_and_saveexec_b64 s[0:1], s[12:13]
	s_cbranch_execnz .LBB5_55
.LBB5_40:
	s_or_b64 exec, exec, s[0:1]
	s_and_saveexec_b64 s[0:1], s[14:15]
	s_cbranch_execnz .LBB5_56
.LBB5_41:
	s_or_b64 exec, exec, s[0:1]
	s_and_saveexec_b64 s[0:1], s[16:17]
	s_cbranch_execnz .LBB5_57
.LBB5_42:
	s_or_b64 exec, exec, s[0:1]
	s_and_saveexec_b64 s[0:1], s[18:19]
	s_cbranch_execnz .LBB5_58
.LBB5_43:
	s_or_b64 exec, exec, s[0:1]
	s_and_saveexec_b64 s[0:1], s[20:21]
	s_cbranch_execnz .LBB5_59
.LBB5_44:
	s_or_b64 exec, exec, s[0:1]
	s_and_saveexec_b64 s[0:1], s[22:23]
	s_cbranch_execnz .LBB5_60
.LBB5_45:
	s_or_b64 exec, exec, s[0:1]
	s_and_saveexec_b64 s[0:1], s[24:25]
	s_cbranch_execnz .LBB5_61
.LBB5_46:
	s_or_b64 exec, exec, s[0:1]
	s_and_saveexec_b64 s[0:1], s[26:27]
	s_cbranch_execnz .LBB5_62
.LBB5_47:
	s_or_b64 exec, exec, s[0:1]
	s_and_saveexec_b64 s[0:1], s[28:29]
	s_cbranch_execnz .LBB5_63
.LBB5_48:
	s_or_b64 exec, exec, s[0:1]
	s_and_saveexec_b64 s[0:1], s[30:31]
	s_cbranch_execnz .LBB5_64
.LBB5_49:
	s_endpgm
.LBB5_50:
	ds_read_b32 v16, v19
	s_waitcnt lgkmcnt(0)
	global_store_dword v[2:3], v16, off
	s_or_b64 exec, exec, s[4:5]
	s_and_saveexec_b64 s[0:1], s[2:3]
	s_cbranch_execz .LBB5_36
.LBB5_51:
	global_store_dword v[2:3], v14, off offset:1024
	s_or_b64 exec, exec, s[0:1]
	s_and_saveexec_b64 s[0:1], s[6:7]
	s_cbranch_execz .LBB5_37
.LBB5_52:
	global_store_dword v[2:3], v15, off offset:2048
	s_or_b64 exec, exec, s[0:1]
	s_and_saveexec_b64 s[0:1], s[8:9]
	s_cbranch_execz .LBB5_38
.LBB5_53:
	global_store_dword v[2:3], v12, off offset:3072
	s_or_b64 exec, exec, s[0:1]
	s_and_saveexec_b64 s[0:1], s[10:11]
	s_cbranch_execz .LBB5_39
.LBB5_54:
	v_add_co_u32_e32 v14, vcc, 0x1000, v2
	v_addc_co_u32_e32 v15, vcc, 0, v3, vcc
	global_store_dword v[14:15], v13, off
	s_or_b64 exec, exec, s[0:1]
	s_and_saveexec_b64 s[0:1], s[12:13]
	s_cbranch_execz .LBB5_40
.LBB5_55:
	v_add_co_u32_e32 v12, vcc, 0x1000, v2
	v_addc_co_u32_e32 v13, vcc, 0, v3, vcc
	global_store_dword v[12:13], v10, off offset:1024
	s_or_b64 exec, exec, s[0:1]
	s_and_saveexec_b64 s[0:1], s[14:15]
	s_cbranch_execz .LBB5_41
.LBB5_56:
	v_add_co_u32_e32 v12, vcc, 0x1000, v2
	v_addc_co_u32_e32 v13, vcc, 0, v3, vcc
	global_store_dword v[12:13], v11, off offset:2048
	s_or_b64 exec, exec, s[0:1]
	s_and_saveexec_b64 s[0:1], s[16:17]
	s_cbranch_execz .LBB5_42
.LBB5_57:
	v_add_co_u32_e32 v10, vcc, 0x1000, v2
	v_addc_co_u32_e32 v11, vcc, 0, v3, vcc
	global_store_dword v[10:11], v8, off offset:3072
	s_or_b64 exec, exec, s[0:1]
	s_and_saveexec_b64 s[0:1], s[18:19]
	s_cbranch_execz .LBB5_43
.LBB5_58:
	v_add_co_u32_e32 v10, vcc, 0x2000, v2
	v_addc_co_u32_e32 v11, vcc, 0, v3, vcc
	global_store_dword v[10:11], v9, off
	s_or_b64 exec, exec, s[0:1]
	s_and_saveexec_b64 s[0:1], s[20:21]
	s_cbranch_execz .LBB5_44
.LBB5_59:
	v_add_co_u32_e32 v8, vcc, 0x2000, v2
	v_addc_co_u32_e32 v9, vcc, 0, v3, vcc
	global_store_dword v[8:9], v6, off offset:1024
	s_or_b64 exec, exec, s[0:1]
	s_and_saveexec_b64 s[0:1], s[22:23]
	s_cbranch_execz .LBB5_45
.LBB5_60:
	v_add_co_u32_e32 v8, vcc, 0x2000, v2
	v_addc_co_u32_e32 v9, vcc, 0, v3, vcc
	global_store_dword v[8:9], v7, off offset:2048
	s_or_b64 exec, exec, s[0:1]
	s_and_saveexec_b64 s[0:1], s[24:25]
	s_cbranch_execz .LBB5_46
.LBB5_61:
	v_add_co_u32_e32 v6, vcc, 0x2000, v2
	v_addc_co_u32_e32 v7, vcc, 0, v3, vcc
	global_store_dword v[6:7], v4, off offset:3072
	s_or_b64 exec, exec, s[0:1]
	s_and_saveexec_b64 s[0:1], s[26:27]
	s_cbranch_execz .LBB5_47
.LBB5_62:
	v_add_co_u32_e32 v6, vcc, 0x3000, v2
	v_addc_co_u32_e32 v7, vcc, 0, v3, vcc
	global_store_dword v[6:7], v5, off
	s_or_b64 exec, exec, s[0:1]
	s_and_saveexec_b64 s[0:1], s[28:29]
	s_cbranch_execz .LBB5_48
.LBB5_63:
	v_add_co_u32_e32 v4, vcc, 0x3000, v2
	v_addc_co_u32_e32 v5, vcc, 0, v3, vcc
	global_store_dword v[4:5], v0, off offset:1024
	s_or_b64 exec, exec, s[0:1]
	s_and_saveexec_b64 s[0:1], s[30:31]
	s_cbranch_execz .LBB5_49
.LBB5_64:
	v_add_co_u32_e32 v2, vcc, 0x3000, v2
	v_addc_co_u32_e32 v3, vcc, 0, v3, vcc
	global_store_dword v[2:3], v1, off offset:2048
	s_endpgm
	.section	.rodata,"a",@progbits
	.p2align	6, 0x0
	.amdhsa_kernel _ZN7rocprim17ROCPRIM_304000_NS6detail18single_scan_kernelILb0ENS1_19wrapped_scan_configINS0_14default_configEiEEPKiPiSt4plusIvEiiEEvT1_mT4_T2_T3_
		.amdhsa_group_segment_fixed_size 15360
		.amdhsa_private_segment_fixed_size 0
		.amdhsa_kernarg_size 36
		.amdhsa_user_sgpr_count 6
		.amdhsa_user_sgpr_private_segment_buffer 1
		.amdhsa_user_sgpr_dispatch_ptr 0
		.amdhsa_user_sgpr_queue_ptr 0
		.amdhsa_user_sgpr_kernarg_segment_ptr 1
		.amdhsa_user_sgpr_dispatch_id 0
		.amdhsa_user_sgpr_flat_scratch_init 0
		.amdhsa_user_sgpr_private_segment_size 0
		.amdhsa_uses_dynamic_stack 0
		.amdhsa_system_sgpr_private_segment_wavefront_offset 0
		.amdhsa_system_sgpr_workgroup_id_x 1
		.amdhsa_system_sgpr_workgroup_id_y 0
		.amdhsa_system_sgpr_workgroup_id_z 0
		.amdhsa_system_sgpr_workgroup_info 0
		.amdhsa_system_vgpr_workitem_id 0
		.amdhsa_next_free_vgpr 49
		.amdhsa_next_free_sgpr 98
		.amdhsa_reserve_vcc 1
		.amdhsa_reserve_flat_scratch 0
		.amdhsa_float_round_mode_32 0
		.amdhsa_float_round_mode_16_64 0
		.amdhsa_float_denorm_mode_32 3
		.amdhsa_float_denorm_mode_16_64 3
		.amdhsa_dx10_clamp 1
		.amdhsa_ieee_mode 1
		.amdhsa_fp16_overflow 0
		.amdhsa_exception_fp_ieee_invalid_op 0
		.amdhsa_exception_fp_denorm_src 0
		.amdhsa_exception_fp_ieee_div_zero 0
		.amdhsa_exception_fp_ieee_overflow 0
		.amdhsa_exception_fp_ieee_underflow 0
		.amdhsa_exception_fp_ieee_inexact 0
		.amdhsa_exception_int_div_zero 0
	.end_amdhsa_kernel
	.section	.text._ZN7rocprim17ROCPRIM_304000_NS6detail18single_scan_kernelILb0ENS1_19wrapped_scan_configINS0_14default_configEiEEPKiPiSt4plusIvEiiEEvT1_mT4_T2_T3_,"axG",@progbits,_ZN7rocprim17ROCPRIM_304000_NS6detail18single_scan_kernelILb0ENS1_19wrapped_scan_configINS0_14default_configEiEEPKiPiSt4plusIvEiiEEvT1_mT4_T2_T3_,comdat
.Lfunc_end5:
	.size	_ZN7rocprim17ROCPRIM_304000_NS6detail18single_scan_kernelILb0ENS1_19wrapped_scan_configINS0_14default_configEiEEPKiPiSt4plusIvEiiEEvT1_mT4_T2_T3_, .Lfunc_end5-_ZN7rocprim17ROCPRIM_304000_NS6detail18single_scan_kernelILb0ENS1_19wrapped_scan_configINS0_14default_configEiEEPKiPiSt4plusIvEiiEEvT1_mT4_T2_T3_
                                        ; -- End function
	.set _ZN7rocprim17ROCPRIM_304000_NS6detail18single_scan_kernelILb0ENS1_19wrapped_scan_configINS0_14default_configEiEEPKiPiSt4plusIvEiiEEvT1_mT4_T2_T3_.num_vgpr, 40
	.set _ZN7rocprim17ROCPRIM_304000_NS6detail18single_scan_kernelILb0ENS1_19wrapped_scan_configINS0_14default_configEiEEPKiPiSt4plusIvEiiEEvT1_mT4_T2_T3_.num_agpr, 0
	.set _ZN7rocprim17ROCPRIM_304000_NS6detail18single_scan_kernelILb0ENS1_19wrapped_scan_configINS0_14default_configEiEEPKiPiSt4plusIvEiiEEvT1_mT4_T2_T3_.numbered_sgpr, 36
	.set _ZN7rocprim17ROCPRIM_304000_NS6detail18single_scan_kernelILb0ENS1_19wrapped_scan_configINS0_14default_configEiEEPKiPiSt4plusIvEiiEEvT1_mT4_T2_T3_.num_named_barrier, 0
	.set _ZN7rocprim17ROCPRIM_304000_NS6detail18single_scan_kernelILb0ENS1_19wrapped_scan_configINS0_14default_configEiEEPKiPiSt4plusIvEiiEEvT1_mT4_T2_T3_.private_seg_size, 0
	.set _ZN7rocprim17ROCPRIM_304000_NS6detail18single_scan_kernelILb0ENS1_19wrapped_scan_configINS0_14default_configEiEEPKiPiSt4plusIvEiiEEvT1_mT4_T2_T3_.uses_vcc, 1
	.set _ZN7rocprim17ROCPRIM_304000_NS6detail18single_scan_kernelILb0ENS1_19wrapped_scan_configINS0_14default_configEiEEPKiPiSt4plusIvEiiEEvT1_mT4_T2_T3_.uses_flat_scratch, 0
	.set _ZN7rocprim17ROCPRIM_304000_NS6detail18single_scan_kernelILb0ENS1_19wrapped_scan_configINS0_14default_configEiEEPKiPiSt4plusIvEiiEEvT1_mT4_T2_T3_.has_dyn_sized_stack, 0
	.set _ZN7rocprim17ROCPRIM_304000_NS6detail18single_scan_kernelILb0ENS1_19wrapped_scan_configINS0_14default_configEiEEPKiPiSt4plusIvEiiEEvT1_mT4_T2_T3_.has_recursion, 0
	.set _ZN7rocprim17ROCPRIM_304000_NS6detail18single_scan_kernelILb0ENS1_19wrapped_scan_configINS0_14default_configEiEEPKiPiSt4plusIvEiiEEvT1_mT4_T2_T3_.has_indirect_call, 0
	.section	.AMDGPU.csdata,"",@progbits
; Kernel info:
; codeLenInByte = 2356
; TotalNumSgprs: 40
; NumVgprs: 40
; ScratchSize: 0
; MemoryBound: 0
; FloatMode: 240
; IeeeMode: 1
; LDSByteSize: 15360 bytes/workgroup (compile time only)
; SGPRBlocks: 12
; VGPRBlocks: 12
; NumSGPRsForWavesPerEU: 102
; NumVGPRsForWavesPerEU: 49
; Occupancy: 4
; WaveLimiterHint : 0
; COMPUTE_PGM_RSRC2:SCRATCH_EN: 0
; COMPUTE_PGM_RSRC2:USER_SGPR: 6
; COMPUTE_PGM_RSRC2:TRAP_HANDLER: 0
; COMPUTE_PGM_RSRC2:TGID_X_EN: 1
; COMPUTE_PGM_RSRC2:TGID_Y_EN: 0
; COMPUTE_PGM_RSRC2:TGID_Z_EN: 0
; COMPUTE_PGM_RSRC2:TIDIG_COMP_CNT: 0
	.section	.text._ZN7rocprim17ROCPRIM_304000_NS6detail31init_lookback_scan_state_kernelINS1_19lookback_scan_stateIlLb1ELb1EEEEEvT_jjPNS5_10value_typeE,"axG",@progbits,_ZN7rocprim17ROCPRIM_304000_NS6detail31init_lookback_scan_state_kernelINS1_19lookback_scan_stateIlLb1ELb1EEEEEvT_jjPNS5_10value_typeE,comdat
	.protected	_ZN7rocprim17ROCPRIM_304000_NS6detail31init_lookback_scan_state_kernelINS1_19lookback_scan_stateIlLb1ELb1EEEEEvT_jjPNS5_10value_typeE ; -- Begin function _ZN7rocprim17ROCPRIM_304000_NS6detail31init_lookback_scan_state_kernelINS1_19lookback_scan_stateIlLb1ELb1EEEEEvT_jjPNS5_10value_typeE
	.globl	_ZN7rocprim17ROCPRIM_304000_NS6detail31init_lookback_scan_state_kernelINS1_19lookback_scan_stateIlLb1ELb1EEEEEvT_jjPNS5_10value_typeE
	.p2align	8
	.type	_ZN7rocprim17ROCPRIM_304000_NS6detail31init_lookback_scan_state_kernelINS1_19lookback_scan_stateIlLb1ELb1EEEEEvT_jjPNS5_10value_typeE,@function
_ZN7rocprim17ROCPRIM_304000_NS6detail31init_lookback_scan_state_kernelINS1_19lookback_scan_stateIlLb1ELb1EEEEEvT_jjPNS5_10value_typeE: ; @_ZN7rocprim17ROCPRIM_304000_NS6detail31init_lookback_scan_state_kernelINS1_19lookback_scan_stateIlLb1ELb1EEEEEvT_jjPNS5_10value_typeE
; %bb.0:
	s_load_dword s7, s[4:5], 0x24
	s_load_dwordx2 s[8:9], s[4:5], 0x10
	s_load_dwordx4 s[0:3], s[4:5], 0x0
	s_waitcnt lgkmcnt(0)
	s_and_b32 s4, s7, 0xffff
	s_mul_i32 s6, s6, s4
	s_cmp_eq_u64 s[8:9], 0
	v_add_u32_e32 v0, s6, v0
	s_cbranch_scc1 .LBB6_10
; %bb.1:
	s_cmp_lt_u32 s3, s2
	s_cselect_b32 s4, s3, 0
	s_mov_b32 s7, 0
	v_cmp_eq_u32_e32 vcc, s4, v0
	s_and_saveexec_b64 s[4:5], vcc
	s_cbranch_execz .LBB6_9
; %bb.2:
	s_add_i32 s6, s3, 64
	s_lshl_b64 s[6:7], s[6:7], 4
	s_add_u32 s12, s0, s6
	s_addc_u32 s13, s1, s7
	v_mov_b32_e32 v1, s12
	v_mov_b32_e32 v2, s13
	;;#ASMSTART
	global_load_dwordx4 v[1:4], v[1:2] off glc	
s_waitcnt vmcnt(0)
	;;#ASMEND
	v_and_b32_e32 v4, 0xff, v3
	v_mov_b32_e32 v5, 0
	v_cmp_eq_u64_e32 vcc, 0, v[4:5]
	s_mov_b64 s[10:11], 0
	s_and_saveexec_b64 s[6:7], vcc
	s_cbranch_execz .LBB6_8
; %bb.3:
	v_mov_b32_e32 v6, s12
	s_mov_b32 s3, 1
	v_mov_b32_e32 v7, s13
.LBB6_4:                                ; =>This Loop Header: Depth=1
                                        ;     Child Loop BB6_5 Depth 2
	s_mov_b32 s12, s3
.LBB6_5:                                ;   Parent Loop BB6_4 Depth=1
                                        ; =>  This Inner Loop Header: Depth=2
	s_add_i32 s12, s12, -1
	s_cmp_eq_u32 s12, 0
	s_sleep 1
	s_cbranch_scc0 .LBB6_5
; %bb.6:                                ;   in Loop: Header=BB6_4 Depth=1
	s_cmp_lt_u32 s3, 32
	;;#ASMSTART
	global_load_dwordx4 v[1:4], v[6:7] off glc	
s_waitcnt vmcnt(0)
	;;#ASMEND
	s_cselect_b64 s[12:13], -1, 0
	v_and_b32_e32 v4, 0xff, v3
	s_cmp_lg_u64 s[12:13], 0
	v_cmp_ne_u64_e32 vcc, 0, v[4:5]
	s_addc_u32 s3, s3, 0
	s_or_b64 s[10:11], vcc, s[10:11]
	s_andn2_b64 exec, exec, s[10:11]
	s_cbranch_execnz .LBB6_4
; %bb.7:
	s_or_b64 exec, exec, s[10:11]
.LBB6_8:
	s_or_b64 exec, exec, s[6:7]
	v_mov_b32_e32 v3, 0
	global_store_dwordx2 v3, v[1:2], s[8:9]
.LBB6_9:
	s_or_b64 exec, exec, s[4:5]
.LBB6_10:
	v_cmp_gt_u32_e32 vcc, s2, v0
	s_and_saveexec_b64 s[2:3], vcc
	s_cbranch_execnz .LBB6_13
; %bb.11:
	s_or_b64 exec, exec, s[2:3]
	v_cmp_gt_u32_e32 vcc, 64, v0
	s_and_saveexec_b64 s[2:3], vcc
	s_cbranch_execnz .LBB6_14
.LBB6_12:
	s_endpgm
.LBB6_13:
	v_add_u32_e32 v1, 64, v0
	v_mov_b32_e32 v2, 0
	v_lshlrev_b64 v[3:4], 4, v[1:2]
	v_mov_b32_e32 v1, s1
	v_add_co_u32_e32 v5, vcc, s0, v3
	v_addc_co_u32_e32 v6, vcc, v1, v4, vcc
	v_mov_b32_e32 v1, v2
	v_mov_b32_e32 v3, v2
	;; [unrolled: 1-line block ×3, first 2 shown]
	global_store_dwordx4 v[5:6], v[1:4], off
	s_or_b64 exec, exec, s[2:3]
	v_cmp_gt_u32_e32 vcc, 64, v0
	s_and_saveexec_b64 s[2:3], vcc
	s_cbranch_execz .LBB6_12
.LBB6_14:
	v_mov_b32_e32 v1, 0
	v_lshlrev_b64 v[2:3], 4, v[0:1]
	v_mov_b32_e32 v0, s1
	v_add_co_u32_e32 v4, vcc, s0, v2
	v_addc_co_u32_e32 v5, vcc, v0, v3, vcc
	v_mov_b32_e32 v2, 0xff
	v_mov_b32_e32 v0, v1
	;; [unrolled: 1-line block ×3, first 2 shown]
	global_store_dwordx4 v[4:5], v[0:3], off
	s_endpgm
	.section	.rodata,"a",@progbits
	.p2align	6, 0x0
	.amdhsa_kernel _ZN7rocprim17ROCPRIM_304000_NS6detail31init_lookback_scan_state_kernelINS1_19lookback_scan_stateIlLb1ELb1EEEEEvT_jjPNS5_10value_typeE
		.amdhsa_group_segment_fixed_size 0
		.amdhsa_private_segment_fixed_size 0
		.amdhsa_kernarg_size 280
		.amdhsa_user_sgpr_count 6
		.amdhsa_user_sgpr_private_segment_buffer 1
		.amdhsa_user_sgpr_dispatch_ptr 0
		.amdhsa_user_sgpr_queue_ptr 0
		.amdhsa_user_sgpr_kernarg_segment_ptr 1
		.amdhsa_user_sgpr_dispatch_id 0
		.amdhsa_user_sgpr_flat_scratch_init 0
		.amdhsa_user_sgpr_private_segment_size 0
		.amdhsa_uses_dynamic_stack 0
		.amdhsa_system_sgpr_private_segment_wavefront_offset 0
		.amdhsa_system_sgpr_workgroup_id_x 1
		.amdhsa_system_sgpr_workgroup_id_y 0
		.amdhsa_system_sgpr_workgroup_id_z 0
		.amdhsa_system_sgpr_workgroup_info 0
		.amdhsa_system_vgpr_workitem_id 0
		.amdhsa_next_free_vgpr 8
		.amdhsa_next_free_sgpr 14
		.amdhsa_reserve_vcc 1
		.amdhsa_reserve_flat_scratch 0
		.amdhsa_float_round_mode_32 0
		.amdhsa_float_round_mode_16_64 0
		.amdhsa_float_denorm_mode_32 3
		.amdhsa_float_denorm_mode_16_64 3
		.amdhsa_dx10_clamp 1
		.amdhsa_ieee_mode 1
		.amdhsa_fp16_overflow 0
		.amdhsa_exception_fp_ieee_invalid_op 0
		.amdhsa_exception_fp_denorm_src 0
		.amdhsa_exception_fp_ieee_div_zero 0
		.amdhsa_exception_fp_ieee_overflow 0
		.amdhsa_exception_fp_ieee_underflow 0
		.amdhsa_exception_fp_ieee_inexact 0
		.amdhsa_exception_int_div_zero 0
	.end_amdhsa_kernel
	.section	.text._ZN7rocprim17ROCPRIM_304000_NS6detail31init_lookback_scan_state_kernelINS1_19lookback_scan_stateIlLb1ELb1EEEEEvT_jjPNS5_10value_typeE,"axG",@progbits,_ZN7rocprim17ROCPRIM_304000_NS6detail31init_lookback_scan_state_kernelINS1_19lookback_scan_stateIlLb1ELb1EEEEEvT_jjPNS5_10value_typeE,comdat
.Lfunc_end6:
	.size	_ZN7rocprim17ROCPRIM_304000_NS6detail31init_lookback_scan_state_kernelINS1_19lookback_scan_stateIlLb1ELb1EEEEEvT_jjPNS5_10value_typeE, .Lfunc_end6-_ZN7rocprim17ROCPRIM_304000_NS6detail31init_lookback_scan_state_kernelINS1_19lookback_scan_stateIlLb1ELb1EEEEEvT_jjPNS5_10value_typeE
                                        ; -- End function
	.set _ZN7rocprim17ROCPRIM_304000_NS6detail31init_lookback_scan_state_kernelINS1_19lookback_scan_stateIlLb1ELb1EEEEEvT_jjPNS5_10value_typeE.num_vgpr, 8
	.set _ZN7rocprim17ROCPRIM_304000_NS6detail31init_lookback_scan_state_kernelINS1_19lookback_scan_stateIlLb1ELb1EEEEEvT_jjPNS5_10value_typeE.num_agpr, 0
	.set _ZN7rocprim17ROCPRIM_304000_NS6detail31init_lookback_scan_state_kernelINS1_19lookback_scan_stateIlLb1ELb1EEEEEvT_jjPNS5_10value_typeE.numbered_sgpr, 14
	.set _ZN7rocprim17ROCPRIM_304000_NS6detail31init_lookback_scan_state_kernelINS1_19lookback_scan_stateIlLb1ELb1EEEEEvT_jjPNS5_10value_typeE.num_named_barrier, 0
	.set _ZN7rocprim17ROCPRIM_304000_NS6detail31init_lookback_scan_state_kernelINS1_19lookback_scan_stateIlLb1ELb1EEEEEvT_jjPNS5_10value_typeE.private_seg_size, 0
	.set _ZN7rocprim17ROCPRIM_304000_NS6detail31init_lookback_scan_state_kernelINS1_19lookback_scan_stateIlLb1ELb1EEEEEvT_jjPNS5_10value_typeE.uses_vcc, 1
	.set _ZN7rocprim17ROCPRIM_304000_NS6detail31init_lookback_scan_state_kernelINS1_19lookback_scan_stateIlLb1ELb1EEEEEvT_jjPNS5_10value_typeE.uses_flat_scratch, 0
	.set _ZN7rocprim17ROCPRIM_304000_NS6detail31init_lookback_scan_state_kernelINS1_19lookback_scan_stateIlLb1ELb1EEEEEvT_jjPNS5_10value_typeE.has_dyn_sized_stack, 0
	.set _ZN7rocprim17ROCPRIM_304000_NS6detail31init_lookback_scan_state_kernelINS1_19lookback_scan_stateIlLb1ELb1EEEEEvT_jjPNS5_10value_typeE.has_recursion, 0
	.set _ZN7rocprim17ROCPRIM_304000_NS6detail31init_lookback_scan_state_kernelINS1_19lookback_scan_stateIlLb1ELb1EEEEEvT_jjPNS5_10value_typeE.has_indirect_call, 0
	.section	.AMDGPU.csdata,"",@progbits
; Kernel info:
; codeLenInByte = 404
; TotalNumSgprs: 18
; NumVgprs: 8
; ScratchSize: 0
; MemoryBound: 0
; FloatMode: 240
; IeeeMode: 1
; LDSByteSize: 0 bytes/workgroup (compile time only)
; SGPRBlocks: 2
; VGPRBlocks: 1
; NumSGPRsForWavesPerEU: 18
; NumVGPRsForWavesPerEU: 8
; Occupancy: 10
; WaveLimiterHint : 0
; COMPUTE_PGM_RSRC2:SCRATCH_EN: 0
; COMPUTE_PGM_RSRC2:USER_SGPR: 6
; COMPUTE_PGM_RSRC2:TRAP_HANDLER: 0
; COMPUTE_PGM_RSRC2:TGID_X_EN: 1
; COMPUTE_PGM_RSRC2:TGID_Y_EN: 0
; COMPUTE_PGM_RSRC2:TGID_Z_EN: 0
; COMPUTE_PGM_RSRC2:TIDIG_COMP_CNT: 0
	.section	.text._ZN7rocprim17ROCPRIM_304000_NS6detail31init_lookback_scan_state_kernelINS1_19lookback_scan_stateIlLb0ELb1EEEEEvT_jjPNS5_10value_typeE,"axG",@progbits,_ZN7rocprim17ROCPRIM_304000_NS6detail31init_lookback_scan_state_kernelINS1_19lookback_scan_stateIlLb0ELb1EEEEEvT_jjPNS5_10value_typeE,comdat
	.protected	_ZN7rocprim17ROCPRIM_304000_NS6detail31init_lookback_scan_state_kernelINS1_19lookback_scan_stateIlLb0ELb1EEEEEvT_jjPNS5_10value_typeE ; -- Begin function _ZN7rocprim17ROCPRIM_304000_NS6detail31init_lookback_scan_state_kernelINS1_19lookback_scan_stateIlLb0ELb1EEEEEvT_jjPNS5_10value_typeE
	.globl	_ZN7rocprim17ROCPRIM_304000_NS6detail31init_lookback_scan_state_kernelINS1_19lookback_scan_stateIlLb0ELb1EEEEEvT_jjPNS5_10value_typeE
	.p2align	8
	.type	_ZN7rocprim17ROCPRIM_304000_NS6detail31init_lookback_scan_state_kernelINS1_19lookback_scan_stateIlLb0ELb1EEEEEvT_jjPNS5_10value_typeE,@function
_ZN7rocprim17ROCPRIM_304000_NS6detail31init_lookback_scan_state_kernelINS1_19lookback_scan_stateIlLb0ELb1EEEEEvT_jjPNS5_10value_typeE: ; @_ZN7rocprim17ROCPRIM_304000_NS6detail31init_lookback_scan_state_kernelINS1_19lookback_scan_stateIlLb0ELb1EEEEEvT_jjPNS5_10value_typeE
; %bb.0:
	s_load_dword s7, s[4:5], 0x24
	s_load_dwordx2 s[8:9], s[4:5], 0x10
	s_load_dwordx4 s[0:3], s[4:5], 0x0
	s_waitcnt lgkmcnt(0)
	s_and_b32 s4, s7, 0xffff
	s_mul_i32 s6, s6, s4
	s_cmp_eq_u64 s[8:9], 0
	v_add_u32_e32 v0, s6, v0
	s_cbranch_scc1 .LBB7_8
; %bb.1:
	s_cmp_lt_u32 s3, s2
	s_cselect_b32 s4, s3, 0
	s_mov_b32 s7, 0
	v_cmp_eq_u32_e32 vcc, s4, v0
	s_and_saveexec_b64 s[4:5], vcc
	s_cbranch_execz .LBB7_7
; %bb.2:
	s_add_i32 s6, s3, 64
	s_lshl_b64 s[6:7], s[6:7], 4
	s_add_u32 s12, s0, s6
	s_addc_u32 s13, s1, s7
	v_mov_b32_e32 v1, s12
	v_mov_b32_e32 v2, s13
	;;#ASMSTART
	global_load_dwordx4 v[1:4], v[1:2] off glc	
s_waitcnt vmcnt(0)
	;;#ASMEND
	v_and_b32_e32 v4, 0xff, v3
	v_mov_b32_e32 v5, 0
	v_cmp_eq_u64_e32 vcc, 0, v[4:5]
	s_mov_b64 s[10:11], 0
	s_and_saveexec_b64 s[6:7], vcc
	s_cbranch_execz .LBB7_6
; %bb.3:
	v_mov_b32_e32 v6, s12
	v_mov_b32_e32 v7, s13
.LBB7_4:                                ; =>This Inner Loop Header: Depth=1
	;;#ASMSTART
	global_load_dwordx4 v[1:4], v[6:7] off glc	
s_waitcnt vmcnt(0)
	;;#ASMEND
	v_and_b32_e32 v4, 0xff, v3
	v_cmp_ne_u64_e32 vcc, 0, v[4:5]
	s_or_b64 s[10:11], vcc, s[10:11]
	s_andn2_b64 exec, exec, s[10:11]
	s_cbranch_execnz .LBB7_4
; %bb.5:
	s_or_b64 exec, exec, s[10:11]
.LBB7_6:
	s_or_b64 exec, exec, s[6:7]
	v_mov_b32_e32 v3, 0
	global_store_dwordx2 v3, v[1:2], s[8:9]
.LBB7_7:
	s_or_b64 exec, exec, s[4:5]
.LBB7_8:
	v_cmp_gt_u32_e32 vcc, s2, v0
	s_and_saveexec_b64 s[2:3], vcc
	s_cbranch_execnz .LBB7_11
; %bb.9:
	s_or_b64 exec, exec, s[2:3]
	v_cmp_gt_u32_e32 vcc, 64, v0
	s_and_saveexec_b64 s[2:3], vcc
	s_cbranch_execnz .LBB7_12
.LBB7_10:
	s_endpgm
.LBB7_11:
	v_add_u32_e32 v1, 64, v0
	v_mov_b32_e32 v2, 0
	v_lshlrev_b64 v[3:4], 4, v[1:2]
	v_mov_b32_e32 v1, s1
	v_add_co_u32_e32 v5, vcc, s0, v3
	v_addc_co_u32_e32 v6, vcc, v1, v4, vcc
	v_mov_b32_e32 v1, v2
	v_mov_b32_e32 v3, v2
	;; [unrolled: 1-line block ×3, first 2 shown]
	global_store_dwordx4 v[5:6], v[1:4], off
	s_or_b64 exec, exec, s[2:3]
	v_cmp_gt_u32_e32 vcc, 64, v0
	s_and_saveexec_b64 s[2:3], vcc
	s_cbranch_execz .LBB7_10
.LBB7_12:
	v_mov_b32_e32 v1, 0
	v_lshlrev_b64 v[2:3], 4, v[0:1]
	v_mov_b32_e32 v0, s1
	v_add_co_u32_e32 v4, vcc, s0, v2
	v_addc_co_u32_e32 v5, vcc, v0, v3, vcc
	v_mov_b32_e32 v2, 0xff
	v_mov_b32_e32 v0, v1
	;; [unrolled: 1-line block ×3, first 2 shown]
	global_store_dwordx4 v[4:5], v[0:3], off
	s_endpgm
	.section	.rodata,"a",@progbits
	.p2align	6, 0x0
	.amdhsa_kernel _ZN7rocprim17ROCPRIM_304000_NS6detail31init_lookback_scan_state_kernelINS1_19lookback_scan_stateIlLb0ELb1EEEEEvT_jjPNS5_10value_typeE
		.amdhsa_group_segment_fixed_size 0
		.amdhsa_private_segment_fixed_size 0
		.amdhsa_kernarg_size 280
		.amdhsa_user_sgpr_count 6
		.amdhsa_user_sgpr_private_segment_buffer 1
		.amdhsa_user_sgpr_dispatch_ptr 0
		.amdhsa_user_sgpr_queue_ptr 0
		.amdhsa_user_sgpr_kernarg_segment_ptr 1
		.amdhsa_user_sgpr_dispatch_id 0
		.amdhsa_user_sgpr_flat_scratch_init 0
		.amdhsa_user_sgpr_private_segment_size 0
		.amdhsa_uses_dynamic_stack 0
		.amdhsa_system_sgpr_private_segment_wavefront_offset 0
		.amdhsa_system_sgpr_workgroup_id_x 1
		.amdhsa_system_sgpr_workgroup_id_y 0
		.amdhsa_system_sgpr_workgroup_id_z 0
		.amdhsa_system_sgpr_workgroup_info 0
		.amdhsa_system_vgpr_workitem_id 0
		.amdhsa_next_free_vgpr 8
		.amdhsa_next_free_sgpr 14
		.amdhsa_reserve_vcc 1
		.amdhsa_reserve_flat_scratch 0
		.amdhsa_float_round_mode_32 0
		.amdhsa_float_round_mode_16_64 0
		.amdhsa_float_denorm_mode_32 3
		.amdhsa_float_denorm_mode_16_64 3
		.amdhsa_dx10_clamp 1
		.amdhsa_ieee_mode 1
		.amdhsa_fp16_overflow 0
		.amdhsa_exception_fp_ieee_invalid_op 0
		.amdhsa_exception_fp_denorm_src 0
		.amdhsa_exception_fp_ieee_div_zero 0
		.amdhsa_exception_fp_ieee_overflow 0
		.amdhsa_exception_fp_ieee_underflow 0
		.amdhsa_exception_fp_ieee_inexact 0
		.amdhsa_exception_int_div_zero 0
	.end_amdhsa_kernel
	.section	.text._ZN7rocprim17ROCPRIM_304000_NS6detail31init_lookback_scan_state_kernelINS1_19lookback_scan_stateIlLb0ELb1EEEEEvT_jjPNS5_10value_typeE,"axG",@progbits,_ZN7rocprim17ROCPRIM_304000_NS6detail31init_lookback_scan_state_kernelINS1_19lookback_scan_stateIlLb0ELb1EEEEEvT_jjPNS5_10value_typeE,comdat
.Lfunc_end7:
	.size	_ZN7rocprim17ROCPRIM_304000_NS6detail31init_lookback_scan_state_kernelINS1_19lookback_scan_stateIlLb0ELb1EEEEEvT_jjPNS5_10value_typeE, .Lfunc_end7-_ZN7rocprim17ROCPRIM_304000_NS6detail31init_lookback_scan_state_kernelINS1_19lookback_scan_stateIlLb0ELb1EEEEEvT_jjPNS5_10value_typeE
                                        ; -- End function
	.set _ZN7rocprim17ROCPRIM_304000_NS6detail31init_lookback_scan_state_kernelINS1_19lookback_scan_stateIlLb0ELb1EEEEEvT_jjPNS5_10value_typeE.num_vgpr, 8
	.set _ZN7rocprim17ROCPRIM_304000_NS6detail31init_lookback_scan_state_kernelINS1_19lookback_scan_stateIlLb0ELb1EEEEEvT_jjPNS5_10value_typeE.num_agpr, 0
	.set _ZN7rocprim17ROCPRIM_304000_NS6detail31init_lookback_scan_state_kernelINS1_19lookback_scan_stateIlLb0ELb1EEEEEvT_jjPNS5_10value_typeE.numbered_sgpr, 14
	.set _ZN7rocprim17ROCPRIM_304000_NS6detail31init_lookback_scan_state_kernelINS1_19lookback_scan_stateIlLb0ELb1EEEEEvT_jjPNS5_10value_typeE.num_named_barrier, 0
	.set _ZN7rocprim17ROCPRIM_304000_NS6detail31init_lookback_scan_state_kernelINS1_19lookback_scan_stateIlLb0ELb1EEEEEvT_jjPNS5_10value_typeE.private_seg_size, 0
	.set _ZN7rocprim17ROCPRIM_304000_NS6detail31init_lookback_scan_state_kernelINS1_19lookback_scan_stateIlLb0ELb1EEEEEvT_jjPNS5_10value_typeE.uses_vcc, 1
	.set _ZN7rocprim17ROCPRIM_304000_NS6detail31init_lookback_scan_state_kernelINS1_19lookback_scan_stateIlLb0ELb1EEEEEvT_jjPNS5_10value_typeE.uses_flat_scratch, 0
	.set _ZN7rocprim17ROCPRIM_304000_NS6detail31init_lookback_scan_state_kernelINS1_19lookback_scan_stateIlLb0ELb1EEEEEvT_jjPNS5_10value_typeE.has_dyn_sized_stack, 0
	.set _ZN7rocprim17ROCPRIM_304000_NS6detail31init_lookback_scan_state_kernelINS1_19lookback_scan_stateIlLb0ELb1EEEEEvT_jjPNS5_10value_typeE.has_recursion, 0
	.set _ZN7rocprim17ROCPRIM_304000_NS6detail31init_lookback_scan_state_kernelINS1_19lookback_scan_stateIlLb0ELb1EEEEEvT_jjPNS5_10value_typeE.has_indirect_call, 0
	.section	.AMDGPU.csdata,"",@progbits
; Kernel info:
; codeLenInByte = 364
; TotalNumSgprs: 18
; NumVgprs: 8
; ScratchSize: 0
; MemoryBound: 0
; FloatMode: 240
; IeeeMode: 1
; LDSByteSize: 0 bytes/workgroup (compile time only)
; SGPRBlocks: 2
; VGPRBlocks: 1
; NumSGPRsForWavesPerEU: 18
; NumVGPRsForWavesPerEU: 8
; Occupancy: 10
; WaveLimiterHint : 0
; COMPUTE_PGM_RSRC2:SCRATCH_EN: 0
; COMPUTE_PGM_RSRC2:USER_SGPR: 6
; COMPUTE_PGM_RSRC2:TRAP_HANDLER: 0
; COMPUTE_PGM_RSRC2:TGID_X_EN: 1
; COMPUTE_PGM_RSRC2:TGID_Y_EN: 0
; COMPUTE_PGM_RSRC2:TGID_Z_EN: 0
; COMPUTE_PGM_RSRC2:TIDIG_COMP_CNT: 0
	.section	.text._ZN7rocprim17ROCPRIM_304000_NS6detail20lookback_scan_kernelILNS1_25lookback_scan_determinismE0ELb0ENS1_19wrapped_scan_configINS0_14default_configElEEPKlPlSt4plusIvEllNS1_19lookback_scan_stateIlLb1ELb1EEEEEvT2_T3_mT5_T4_T7_jPT6_SK_bb,"axG",@progbits,_ZN7rocprim17ROCPRIM_304000_NS6detail20lookback_scan_kernelILNS1_25lookback_scan_determinismE0ELb0ENS1_19wrapped_scan_configINS0_14default_configElEEPKlPlSt4plusIvEllNS1_19lookback_scan_stateIlLb1ELb1EEEEEvT2_T3_mT5_T4_T7_jPT6_SK_bb,comdat
	.protected	_ZN7rocprim17ROCPRIM_304000_NS6detail20lookback_scan_kernelILNS1_25lookback_scan_determinismE0ELb0ENS1_19wrapped_scan_configINS0_14default_configElEEPKlPlSt4plusIvEllNS1_19lookback_scan_stateIlLb1ELb1EEEEEvT2_T3_mT5_T4_T7_jPT6_SK_bb ; -- Begin function _ZN7rocprim17ROCPRIM_304000_NS6detail20lookback_scan_kernelILNS1_25lookback_scan_determinismE0ELb0ENS1_19wrapped_scan_configINS0_14default_configElEEPKlPlSt4plusIvEllNS1_19lookback_scan_stateIlLb1ELb1EEEEEvT2_T3_mT5_T4_T7_jPT6_SK_bb
	.globl	_ZN7rocprim17ROCPRIM_304000_NS6detail20lookback_scan_kernelILNS1_25lookback_scan_determinismE0ELb0ENS1_19wrapped_scan_configINS0_14default_configElEEPKlPlSt4plusIvEllNS1_19lookback_scan_stateIlLb1ELb1EEEEEvT2_T3_mT5_T4_T7_jPT6_SK_bb
	.p2align	8
	.type	_ZN7rocprim17ROCPRIM_304000_NS6detail20lookback_scan_kernelILNS1_25lookback_scan_determinismE0ELb0ENS1_19wrapped_scan_configINS0_14default_configElEEPKlPlSt4plusIvEllNS1_19lookback_scan_stateIlLb1ELb1EEEEEvT2_T3_mT5_T4_T7_jPT6_SK_bb,@function
_ZN7rocprim17ROCPRIM_304000_NS6detail20lookback_scan_kernelILNS1_25lookback_scan_determinismE0ELb0ENS1_19wrapped_scan_configINS0_14default_configElEEPKlPlSt4plusIvEllNS1_19lookback_scan_stateIlLb1ELb1EEEEEvT2_T3_mT5_T4_T7_jPT6_SK_bb: ; @_ZN7rocprim17ROCPRIM_304000_NS6detail20lookback_scan_kernelILNS1_25lookback_scan_determinismE0ELb0ENS1_19wrapped_scan_configINS0_14default_configElEEPKlPlSt4plusIvEllNS1_19lookback_scan_stateIlLb1ELb1EEEEEvT2_T3_mT5_T4_T7_jPT6_SK_bb
; %bb.0:
	s_endpgm
	.section	.rodata,"a",@progbits
	.p2align	6, 0x0
	.amdhsa_kernel _ZN7rocprim17ROCPRIM_304000_NS6detail20lookback_scan_kernelILNS1_25lookback_scan_determinismE0ELb0ENS1_19wrapped_scan_configINS0_14default_configElEEPKlPlSt4plusIvEllNS1_19lookback_scan_stateIlLb1ELb1EEEEEvT2_T3_mT5_T4_T7_jPT6_SK_bb
		.amdhsa_group_segment_fixed_size 0
		.amdhsa_private_segment_fixed_size 0
		.amdhsa_kernarg_size 76
		.amdhsa_user_sgpr_count 6
		.amdhsa_user_sgpr_private_segment_buffer 1
		.amdhsa_user_sgpr_dispatch_ptr 0
		.amdhsa_user_sgpr_queue_ptr 0
		.amdhsa_user_sgpr_kernarg_segment_ptr 1
		.amdhsa_user_sgpr_dispatch_id 0
		.amdhsa_user_sgpr_flat_scratch_init 0
		.amdhsa_user_sgpr_private_segment_size 0
		.amdhsa_uses_dynamic_stack 0
		.amdhsa_system_sgpr_private_segment_wavefront_offset 0
		.amdhsa_system_sgpr_workgroup_id_x 1
		.amdhsa_system_sgpr_workgroup_id_y 0
		.amdhsa_system_sgpr_workgroup_id_z 0
		.amdhsa_system_sgpr_workgroup_info 0
		.amdhsa_system_vgpr_workitem_id 0
		.amdhsa_next_free_vgpr 1
		.amdhsa_next_free_sgpr 0
		.amdhsa_reserve_vcc 0
		.amdhsa_reserve_flat_scratch 0
		.amdhsa_float_round_mode_32 0
		.amdhsa_float_round_mode_16_64 0
		.amdhsa_float_denorm_mode_32 3
		.amdhsa_float_denorm_mode_16_64 3
		.amdhsa_dx10_clamp 1
		.amdhsa_ieee_mode 1
		.amdhsa_fp16_overflow 0
		.amdhsa_exception_fp_ieee_invalid_op 0
		.amdhsa_exception_fp_denorm_src 0
		.amdhsa_exception_fp_ieee_div_zero 0
		.amdhsa_exception_fp_ieee_overflow 0
		.amdhsa_exception_fp_ieee_underflow 0
		.amdhsa_exception_fp_ieee_inexact 0
		.amdhsa_exception_int_div_zero 0
	.end_amdhsa_kernel
	.section	.text._ZN7rocprim17ROCPRIM_304000_NS6detail20lookback_scan_kernelILNS1_25lookback_scan_determinismE0ELb0ENS1_19wrapped_scan_configINS0_14default_configElEEPKlPlSt4plusIvEllNS1_19lookback_scan_stateIlLb1ELb1EEEEEvT2_T3_mT5_T4_T7_jPT6_SK_bb,"axG",@progbits,_ZN7rocprim17ROCPRIM_304000_NS6detail20lookback_scan_kernelILNS1_25lookback_scan_determinismE0ELb0ENS1_19wrapped_scan_configINS0_14default_configElEEPKlPlSt4plusIvEllNS1_19lookback_scan_stateIlLb1ELb1EEEEEvT2_T3_mT5_T4_T7_jPT6_SK_bb,comdat
.Lfunc_end8:
	.size	_ZN7rocprim17ROCPRIM_304000_NS6detail20lookback_scan_kernelILNS1_25lookback_scan_determinismE0ELb0ENS1_19wrapped_scan_configINS0_14default_configElEEPKlPlSt4plusIvEllNS1_19lookback_scan_stateIlLb1ELb1EEEEEvT2_T3_mT5_T4_T7_jPT6_SK_bb, .Lfunc_end8-_ZN7rocprim17ROCPRIM_304000_NS6detail20lookback_scan_kernelILNS1_25lookback_scan_determinismE0ELb0ENS1_19wrapped_scan_configINS0_14default_configElEEPKlPlSt4plusIvEllNS1_19lookback_scan_stateIlLb1ELb1EEEEEvT2_T3_mT5_T4_T7_jPT6_SK_bb
                                        ; -- End function
	.set _ZN7rocprim17ROCPRIM_304000_NS6detail20lookback_scan_kernelILNS1_25lookback_scan_determinismE0ELb0ENS1_19wrapped_scan_configINS0_14default_configElEEPKlPlSt4plusIvEllNS1_19lookback_scan_stateIlLb1ELb1EEEEEvT2_T3_mT5_T4_T7_jPT6_SK_bb.num_vgpr, 0
	.set _ZN7rocprim17ROCPRIM_304000_NS6detail20lookback_scan_kernelILNS1_25lookback_scan_determinismE0ELb0ENS1_19wrapped_scan_configINS0_14default_configElEEPKlPlSt4plusIvEllNS1_19lookback_scan_stateIlLb1ELb1EEEEEvT2_T3_mT5_T4_T7_jPT6_SK_bb.num_agpr, 0
	.set _ZN7rocprim17ROCPRIM_304000_NS6detail20lookback_scan_kernelILNS1_25lookback_scan_determinismE0ELb0ENS1_19wrapped_scan_configINS0_14default_configElEEPKlPlSt4plusIvEllNS1_19lookback_scan_stateIlLb1ELb1EEEEEvT2_T3_mT5_T4_T7_jPT6_SK_bb.numbered_sgpr, 0
	.set _ZN7rocprim17ROCPRIM_304000_NS6detail20lookback_scan_kernelILNS1_25lookback_scan_determinismE0ELb0ENS1_19wrapped_scan_configINS0_14default_configElEEPKlPlSt4plusIvEllNS1_19lookback_scan_stateIlLb1ELb1EEEEEvT2_T3_mT5_T4_T7_jPT6_SK_bb.num_named_barrier, 0
	.set _ZN7rocprim17ROCPRIM_304000_NS6detail20lookback_scan_kernelILNS1_25lookback_scan_determinismE0ELb0ENS1_19wrapped_scan_configINS0_14default_configElEEPKlPlSt4plusIvEllNS1_19lookback_scan_stateIlLb1ELb1EEEEEvT2_T3_mT5_T4_T7_jPT6_SK_bb.private_seg_size, 0
	.set _ZN7rocprim17ROCPRIM_304000_NS6detail20lookback_scan_kernelILNS1_25lookback_scan_determinismE0ELb0ENS1_19wrapped_scan_configINS0_14default_configElEEPKlPlSt4plusIvEllNS1_19lookback_scan_stateIlLb1ELb1EEEEEvT2_T3_mT5_T4_T7_jPT6_SK_bb.uses_vcc, 0
	.set _ZN7rocprim17ROCPRIM_304000_NS6detail20lookback_scan_kernelILNS1_25lookback_scan_determinismE0ELb0ENS1_19wrapped_scan_configINS0_14default_configElEEPKlPlSt4plusIvEllNS1_19lookback_scan_stateIlLb1ELb1EEEEEvT2_T3_mT5_T4_T7_jPT6_SK_bb.uses_flat_scratch, 0
	.set _ZN7rocprim17ROCPRIM_304000_NS6detail20lookback_scan_kernelILNS1_25lookback_scan_determinismE0ELb0ENS1_19wrapped_scan_configINS0_14default_configElEEPKlPlSt4plusIvEllNS1_19lookback_scan_stateIlLb1ELb1EEEEEvT2_T3_mT5_T4_T7_jPT6_SK_bb.has_dyn_sized_stack, 0
	.set _ZN7rocprim17ROCPRIM_304000_NS6detail20lookback_scan_kernelILNS1_25lookback_scan_determinismE0ELb0ENS1_19wrapped_scan_configINS0_14default_configElEEPKlPlSt4plusIvEllNS1_19lookback_scan_stateIlLb1ELb1EEEEEvT2_T3_mT5_T4_T7_jPT6_SK_bb.has_recursion, 0
	.set _ZN7rocprim17ROCPRIM_304000_NS6detail20lookback_scan_kernelILNS1_25lookback_scan_determinismE0ELb0ENS1_19wrapped_scan_configINS0_14default_configElEEPKlPlSt4plusIvEllNS1_19lookback_scan_stateIlLb1ELb1EEEEEvT2_T3_mT5_T4_T7_jPT6_SK_bb.has_indirect_call, 0
	.section	.AMDGPU.csdata,"",@progbits
; Kernel info:
; codeLenInByte = 4
; TotalNumSgprs: 4
; NumVgprs: 0
; ScratchSize: 0
; MemoryBound: 0
; FloatMode: 240
; IeeeMode: 1
; LDSByteSize: 0 bytes/workgroup (compile time only)
; SGPRBlocks: 0
; VGPRBlocks: 0
; NumSGPRsForWavesPerEU: 4
; NumVGPRsForWavesPerEU: 1
; Occupancy: 10
; WaveLimiterHint : 0
; COMPUTE_PGM_RSRC2:SCRATCH_EN: 0
; COMPUTE_PGM_RSRC2:USER_SGPR: 6
; COMPUTE_PGM_RSRC2:TRAP_HANDLER: 0
; COMPUTE_PGM_RSRC2:TGID_X_EN: 1
; COMPUTE_PGM_RSRC2:TGID_Y_EN: 0
; COMPUTE_PGM_RSRC2:TGID_Z_EN: 0
; COMPUTE_PGM_RSRC2:TIDIG_COMP_CNT: 0
	.section	.text._ZN7rocprim17ROCPRIM_304000_NS6detail20lookback_scan_kernelILNS1_25lookback_scan_determinismE0ELb0ENS1_19wrapped_scan_configINS0_14default_configElEEPKlPlSt4plusIvEllNS1_19lookback_scan_stateIlLb0ELb1EEEEEvT2_T3_mT5_T4_T7_jPT6_SK_bb,"axG",@progbits,_ZN7rocprim17ROCPRIM_304000_NS6detail20lookback_scan_kernelILNS1_25lookback_scan_determinismE0ELb0ENS1_19wrapped_scan_configINS0_14default_configElEEPKlPlSt4plusIvEllNS1_19lookback_scan_stateIlLb0ELb1EEEEEvT2_T3_mT5_T4_T7_jPT6_SK_bb,comdat
	.protected	_ZN7rocprim17ROCPRIM_304000_NS6detail20lookback_scan_kernelILNS1_25lookback_scan_determinismE0ELb0ENS1_19wrapped_scan_configINS0_14default_configElEEPKlPlSt4plusIvEllNS1_19lookback_scan_stateIlLb0ELb1EEEEEvT2_T3_mT5_T4_T7_jPT6_SK_bb ; -- Begin function _ZN7rocprim17ROCPRIM_304000_NS6detail20lookback_scan_kernelILNS1_25lookback_scan_determinismE0ELb0ENS1_19wrapped_scan_configINS0_14default_configElEEPKlPlSt4plusIvEllNS1_19lookback_scan_stateIlLb0ELb1EEEEEvT2_T3_mT5_T4_T7_jPT6_SK_bb
	.globl	_ZN7rocprim17ROCPRIM_304000_NS6detail20lookback_scan_kernelILNS1_25lookback_scan_determinismE0ELb0ENS1_19wrapped_scan_configINS0_14default_configElEEPKlPlSt4plusIvEllNS1_19lookback_scan_stateIlLb0ELb1EEEEEvT2_T3_mT5_T4_T7_jPT6_SK_bb
	.p2align	8
	.type	_ZN7rocprim17ROCPRIM_304000_NS6detail20lookback_scan_kernelILNS1_25lookback_scan_determinismE0ELb0ENS1_19wrapped_scan_configINS0_14default_configElEEPKlPlSt4plusIvEllNS1_19lookback_scan_stateIlLb0ELb1EEEEEvT2_T3_mT5_T4_T7_jPT6_SK_bb,@function
_ZN7rocprim17ROCPRIM_304000_NS6detail20lookback_scan_kernelILNS1_25lookback_scan_determinismE0ELb0ENS1_19wrapped_scan_configINS0_14default_configElEEPKlPlSt4plusIvEllNS1_19lookback_scan_stateIlLb0ELb1EEEEEvT2_T3_mT5_T4_T7_jPT6_SK_bb: ; @_ZN7rocprim17ROCPRIM_304000_NS6detail20lookback_scan_kernelILNS1_25lookback_scan_determinismE0ELb0ENS1_19wrapped_scan_configINS0_14default_configElEEPKlPlSt4plusIvEllNS1_19lookback_scan_stateIlLb0ELb1EEEEEvT2_T3_mT5_T4_T7_jPT6_SK_bb
; %bb.0:
	s_load_dword s7, s[4:5], 0x30
	s_load_dwordx4 s[0:3], s[4:5], 0x0
	s_load_dwordx2 s[8:9], s[4:5], 0x10
	s_mul_i32 s10, s6, 0x380
	s_mov_b32 s11, 0
	s_waitcnt lgkmcnt(0)
	s_add_i32 s7, s7, -1
	s_mul_i32 s12, s7, 0x380
	s_sub_u32 s18, s8, s12
	s_subb_u32 s19, s9, 0
	s_cmp_lg_u32 s6, s7
	s_cselect_b64 s[12:13], -1, 0
	s_lshl_b64 s[14:15], s[10:11], 3
	s_add_u32 s10, s0, s14
	s_addc_u32 s11, s1, s15
	s_mov_b64 s[0:1], -1
	s_and_b64 vcc, exec, s[12:13]
	v_lshlrev_b32_e32 v43, 3, v0
	s_cbranch_vccz .LBB9_2
; %bb.1:
	v_mov_b32_e32 v1, s11
	v_add_co_u32_e32 v17, vcc, s10, v43
	v_addc_co_u32_e32 v18, vcc, 0, v1, vcc
	v_add_co_u32_e32 v17, vcc, 0x1000, v17
	v_addc_co_u32_e32 v18, vcc, 0, v18, vcc
	global_load_dwordx2 v[1:2], v43, s[10:11]
	global_load_dwordx2 v[3:4], v43, s[10:11] offset:512
	global_load_dwordx2 v[5:6], v43, s[10:11] offset:1024
	;; [unrolled: 1-line block ×7, first 2 shown]
	global_load_dwordx2 v[19:20], v[17:18], off
	global_load_dwordx2 v[21:22], v[17:18], off offset:512
	global_load_dwordx2 v[23:24], v[17:18], off offset:1024
	;; [unrolled: 1-line block ×5, first 2 shown]
	s_mov_b64 s[0:1], 0
	s_waitcnt vmcnt(12)
	ds_write2st64_b64 v43, v[1:2], v[3:4] offset1:1
	s_waitcnt vmcnt(10)
	ds_write2st64_b64 v43, v[5:6], v[7:8] offset0:2 offset1:3
	s_waitcnt vmcnt(8)
	ds_write2st64_b64 v43, v[9:10], v[11:12] offset0:4 offset1:5
	;; [unrolled: 2-line block ×6, first 2 shown]
	s_waitcnt lgkmcnt(0)
	; wave barrier
.LBB9_2:
	s_andn2_b64 vcc, exec, s[0:1]
	v_cmp_gt_u32_e64 s[0:1], s18, v0
	s_cbranch_vccnz .LBB9_32
; %bb.3:
	s_load_dwordx2 s[8:9], s[10:11], 0x0
	v_mov_b32_e32 v1, s11
	v_add_co_u32_e32 v3, vcc, s10, v43
	v_addc_co_u32_e32 v4, vcc, 0, v1, vcc
	s_waitcnt lgkmcnt(0)
	v_mov_b32_e32 v1, s8
	v_mov_b32_e32 v2, s9
	s_and_saveexec_b64 s[10:11], s[0:1]
	s_cbranch_execz .LBB9_5
; %bb.4:
	global_load_dwordx2 v[1:2], v[3:4], off
.LBB9_5:
	s_or_b64 exec, exec, s[10:11]
	v_or_b32_e32 v5, 64, v0
	v_cmp_gt_u32_e32 vcc, s18, v5
	v_mov_b32_e32 v5, s8
	v_mov_b32_e32 v6, s9
	s_and_saveexec_b64 s[0:1], vcc
	s_cbranch_execz .LBB9_7
; %bb.6:
	global_load_dwordx2 v[5:6], v[3:4], off offset:512
.LBB9_7:
	s_or_b64 exec, exec, s[0:1]
	v_or_b32_e32 v7, 0x80, v0
	v_cmp_gt_u32_e32 vcc, s18, v7
	v_mov_b32_e32 v7, s8
	v_mov_b32_e32 v8, s9
	s_and_saveexec_b64 s[0:1], vcc
	s_cbranch_execz .LBB9_9
; %bb.8:
	global_load_dwordx2 v[7:8], v[3:4], off offset:1024
.LBB9_9:
	;; [unrolled: 10-line block ×7, first 2 shown]
	s_or_b64 exec, exec, s[0:1]
	v_or_b32_e32 v19, 0x200, v0
	v_cmp_gt_u32_e32 vcc, s18, v19
	v_mov_b32_e32 v20, s9
	v_mov_b32_e32 v19, s8
	s_and_saveexec_b64 s[0:1], vcc
	s_cbranch_execz .LBB9_21
; %bb.20:
	v_add_co_u32_e32 v19, vcc, 0x1000, v3
	v_addc_co_u32_e32 v20, vcc, 0, v4, vcc
	global_load_dwordx2 v[19:20], v[19:20], off
.LBB9_21:
	s_or_b64 exec, exec, s[0:1]
	v_or_b32_e32 v21, 0x240, v0
	v_cmp_gt_u32_e32 vcc, s18, v21
	v_mov_b32_e32 v22, s9
	v_mov_b32_e32 v21, s8
	s_and_saveexec_b64 s[0:1], vcc
	s_cbranch_execz .LBB9_23
; %bb.22:
	v_add_co_u32_e32 v21, vcc, 0x1000, v3
	v_addc_co_u32_e32 v22, vcc, 0, v4, vcc
	global_load_dwordx2 v[21:22], v[21:22], off offset:512
.LBB9_23:
	s_or_b64 exec, exec, s[0:1]
	v_or_b32_e32 v23, 0x280, v0
	v_cmp_gt_u32_e32 vcc, s18, v23
	v_mov_b32_e32 v24, s9
	v_mov_b32_e32 v23, s8
	s_and_saveexec_b64 s[0:1], vcc
	s_cbranch_execz .LBB9_25
; %bb.24:
	v_add_co_u32_e32 v23, vcc, 0x1000, v3
	v_addc_co_u32_e32 v24, vcc, 0, v4, vcc
	global_load_dwordx2 v[23:24], v[23:24], off offset:1024
.LBB9_25:
	;; [unrolled: 12-line block ×5, first 2 shown]
	s_or_b64 exec, exec, s[0:1]
	s_waitcnt vmcnt(0)
	ds_write2st64_b64 v43, v[1:2], v[5:6] offset1:1
	ds_write2st64_b64 v43, v[7:8], v[9:10] offset0:2 offset1:3
	ds_write2st64_b64 v43, v[11:12], v[13:14] offset0:4 offset1:5
	;; [unrolled: 1-line block ×6, first 2 shown]
	s_waitcnt lgkmcnt(0)
	; wave barrier
.LBB9_32:
	v_mul_u32_u24_e32 v44, 0x70, v0
	ds_read_b128 v[25:28], v44
	ds_read_b128 v[21:24], v44 offset:16
	ds_read_b128 v[17:20], v44 offset:32
	;; [unrolled: 1-line block ×6, first 2 shown]
	s_load_dwordx2 s[16:17], s[4:5], 0x28
	s_cmp_lg_u32 s6, 0
	v_mbcnt_lo_u32_b32 v45, -1, 0
	s_waitcnt lgkmcnt(0)
	; wave barrier
	s_cbranch_scc0 .LBB9_86
; %bb.33:
	v_add_co_u32_e32 v29, vcc, v27, v25
	v_addc_co_u32_e32 v30, vcc, v28, v26, vcc
	v_add_co_u32_e32 v29, vcc, v29, v21
	v_addc_co_u32_e32 v30, vcc, v30, v22, vcc
	v_add_co_u32_e32 v29, vcc, v29, v23
	v_addc_co_u32_e32 v30, vcc, v30, v24, vcc
	v_add_co_u32_e32 v29, vcc, v29, v17
	v_addc_co_u32_e32 v30, vcc, v30, v18, vcc
	v_add_co_u32_e32 v29, vcc, v29, v19
	v_addc_co_u32_e32 v30, vcc, v30, v20, vcc
	v_add_co_u32_e32 v29, vcc, v29, v13
	v_addc_co_u32_e32 v30, vcc, v30, v14, vcc
	v_add_co_u32_e32 v29, vcc, v29, v15
	v_addc_co_u32_e32 v30, vcc, v30, v16, vcc
	v_add_co_u32_e32 v29, vcc, v29, v9
	v_addc_co_u32_e32 v30, vcc, v30, v10, vcc
	v_add_co_u32_e32 v29, vcc, v29, v11
	v_addc_co_u32_e32 v30, vcc, v30, v12, vcc
	v_add_co_u32_e32 v29, vcc, v29, v5
	v_addc_co_u32_e32 v30, vcc, v30, v6, vcc
	v_add_co_u32_e32 v29, vcc, v29, v7
	v_addc_co_u32_e32 v30, vcc, v30, v8, vcc
	v_add_co_u32_e32 v29, vcc, v29, v1
	v_addc_co_u32_e32 v30, vcc, v30, v2, vcc
	v_add_co_u32_e32 v29, vcc, v29, v3
	v_addc_co_u32_e32 v30, vcc, v30, v4, vcc
	v_mbcnt_hi_u32_b32 v40, -1, v45
	v_and_b32_e32 v33, 15, v40
	v_mov_b32_e32 v32, v30
	v_mov_b32_dpp v35, v29 row_shr:1 row_mask:0xf bank_mask:0xf
	v_mov_b32_dpp v34, v30 row_shr:1 row_mask:0xf bank_mask:0xf
	v_cmp_ne_u32_e32 vcc, 0, v33
	v_mov_b32_e32 v31, v29
	s_and_saveexec_b64 s[0:1], vcc
; %bb.34:
	v_add_co_u32_e32 v29, vcc, v29, v35
	v_addc_co_u32_e32 v30, vcc, 0, v30, vcc
	v_add_co_u32_e32 v31, vcc, 0, v29
	v_addc_co_u32_e32 v32, vcc, v34, v30, vcc
	v_mov_b32_e32 v30, v32
; %bb.35:
	s_or_b64 exec, exec, s[0:1]
	v_mov_b32_dpp v35, v29 row_shr:2 row_mask:0xf bank_mask:0xf
	v_mov_b32_dpp v34, v30 row_shr:2 row_mask:0xf bank_mask:0xf
	v_cmp_lt_u32_e32 vcc, 1, v33
	s_and_saveexec_b64 s[0:1], vcc
; %bb.36:
	v_add_co_u32_e32 v29, vcc, v31, v35
	v_addc_co_u32_e32 v30, vcc, 0, v32, vcc
	v_add_co_u32_e32 v31, vcc, 0, v29
	v_addc_co_u32_e32 v32, vcc, v34, v30, vcc
	v_mov_b32_e32 v30, v32
; %bb.37:
	s_or_b64 exec, exec, s[0:1]
	v_mov_b32_dpp v35, v29 row_shr:4 row_mask:0xf bank_mask:0xf
	v_mov_b32_dpp v34, v30 row_shr:4 row_mask:0xf bank_mask:0xf
	v_cmp_lt_u32_e32 vcc, 3, v33
	s_and_saveexec_b64 s[0:1], vcc
; %bb.38:
	v_add_co_u32_e32 v29, vcc, v31, v35
	v_addc_co_u32_e32 v30, vcc, 0, v32, vcc
	v_add_co_u32_e32 v31, vcc, 0, v29
	v_addc_co_u32_e32 v32, vcc, v34, v30, vcc
	v_mov_b32_e32 v30, v32
; %bb.39:
	s_or_b64 exec, exec, s[0:1]
	v_mov_b32_dpp v35, v29 row_shr:8 row_mask:0xf bank_mask:0xf
	v_mov_b32_dpp v34, v30 row_shr:8 row_mask:0xf bank_mask:0xf
	v_cmp_lt_u32_e32 vcc, 7, v33
	s_and_saveexec_b64 s[0:1], vcc
; %bb.40:
	v_add_co_u32_e32 v29, vcc, v31, v35
	v_addc_co_u32_e32 v30, vcc, 0, v32, vcc
	v_add_co_u32_e32 v31, vcc, 0, v29
	v_addc_co_u32_e32 v32, vcc, v34, v30, vcc
	v_mov_b32_e32 v30, v32
; %bb.41:
	s_or_b64 exec, exec, s[0:1]
	v_and_b32_e32 v35, 16, v40
	v_mov_b32_dpp v34, v29 row_bcast:15 row_mask:0xf bank_mask:0xf
	v_mov_b32_dpp v33, v30 row_bcast:15 row_mask:0xf bank_mask:0xf
	v_cmp_ne_u32_e32 vcc, 0, v35
	s_and_saveexec_b64 s[0:1], vcc
; %bb.42:
	v_add_co_u32_e32 v29, vcc, v31, v34
	v_addc_co_u32_e32 v30, vcc, 0, v32, vcc
	v_add_co_u32_e32 v31, vcc, 0, v29
	v_addc_co_u32_e32 v32, vcc, v33, v30, vcc
	v_mov_b32_e32 v30, v32
; %bb.43:
	s_or_b64 exec, exec, s[0:1]
	v_mov_b32_dpp v34, v29 row_bcast:31 row_mask:0xf bank_mask:0xf
	v_mov_b32_dpp v33, v30 row_bcast:31 row_mask:0xf bank_mask:0xf
	v_cmp_lt_u32_e32 vcc, 31, v40
	s_and_saveexec_b64 s[0:1], vcc
; %bb.44:
	v_add_co_u32_e32 v29, vcc, v31, v34
	v_addc_co_u32_e32 v30, vcc, 0, v32, vcc
	v_add_co_u32_e32 v31, vcc, 0, v29
	v_addc_co_u32_e32 v32, vcc, v33, v30, vcc
	v_mov_b32_e32 v30, v32
; %bb.45:
	s_or_b64 exec, exec, s[0:1]
	v_cmp_eq_u32_e32 vcc, 63, v0
	s_and_saveexec_b64 s[0:1], vcc
; %bb.46:
	v_mov_b32_e32 v33, 0
	ds_write_b64 v33, v[31:32]
; %bb.47:
	s_or_b64 exec, exec, s[0:1]
	v_subrev_co_u32_e64 v31, s[0:1], 1, v40
	v_and_b32_e32 v32, 64, v40
	v_cmp_lt_i32_e32 vcc, v31, v32
	v_cndmask_b32_e32 v31, v31, v40, vcc
	v_lshlrev_b32_e32 v31, 2, v31
	v_mov_b32_e32 v32, 0
	s_waitcnt lgkmcnt(0)
	; wave barrier
	ds_bpermute_b32 v46, v31, v29
	ds_bpermute_b32 v47, v31, v30
	ds_read_b64 v[29:30], v32
	s_and_saveexec_b64 s[8:9], s[0:1]
	s_cbranch_execz .LBB9_49
; %bb.48:
	s_add_i32 s10, s6, 64
	s_mov_b32 s11, 0
	s_lshl_b64 s[10:11], s[10:11], 4
	s_add_u32 s10, s16, s10
	s_addc_u32 s11, s17, s11
	v_mov_b32_e32 v34, s11
	v_mov_b32_e32 v31, 1
	;; [unrolled: 1-line block ×3, first 2 shown]
	s_waitcnt lgkmcnt(0)
	;;#ASMSTART
	global_store_dwordx4 v[33:34], v[29:32] off	
s_waitcnt vmcnt(0)
	;;#ASMEND
.LBB9_49:
	s_or_b64 exec, exec, s[8:9]
	v_xad_u32 v37, v40, -1, s6
	v_add_u32_e32 v31, 64, v37
	v_lshlrev_b64 v[33:34], 4, v[31:32]
	v_mov_b32_e32 v31, s17
	v_add_co_u32_e32 v38, vcc, s16, v33
	v_addc_co_u32_e32 v39, vcc, v31, v34, vcc
	;;#ASMSTART
	global_load_dwordx4 v[33:36], v[38:39] off glc	
s_waitcnt vmcnt(0)
	;;#ASMEND
	v_cmp_eq_u16_sdwa s[10:11], v35, v32 src0_sel:BYTE_0 src1_sel:DWORD
	s_and_saveexec_b64 s[8:9], s[10:11]
	s_cbranch_execz .LBB9_53
; %bb.50:
	s_mov_b64 s[10:11], 0
	v_mov_b32_e32 v31, 0
.LBB9_51:                               ; =>This Inner Loop Header: Depth=1
	;;#ASMSTART
	global_load_dwordx4 v[33:36], v[38:39] off glc	
s_waitcnt vmcnt(0)
	;;#ASMEND
	v_cmp_ne_u16_sdwa s[20:21], v35, v31 src0_sel:BYTE_0 src1_sel:DWORD
	s_or_b64 s[10:11], s[20:21], s[10:11]
	s_andn2_b64 exec, exec, s[10:11]
	s_cbranch_execnz .LBB9_51
; %bb.52:
	s_or_b64 exec, exec, s[10:11]
.LBB9_53:
	s_or_b64 exec, exec, s[8:9]
	v_and_b32_e32 v39, 63, v40
	v_mov_b32_e32 v36, 2
	v_lshlrev_b64 v[31:32], v40, -1
	v_cmp_ne_u32_e32 vcc, 63, v39
	v_cmp_eq_u16_sdwa s[8:9], v35, v36 src0_sel:BYTE_0 src1_sel:DWORD
	v_addc_co_u32_e32 v41, vcc, 0, v40, vcc
	v_and_b32_e32 v36, s9, v32
	v_lshlrev_b32_e32 v48, 2, v41
	v_or_b32_e32 v36, 0x80000000, v36
	ds_bpermute_b32 v42, v48, v33
	ds_bpermute_b32 v41, v48, v34
	v_and_b32_e32 v38, s8, v31
	v_ffbl_b32_e32 v36, v36
	v_add_u32_e32 v36, 32, v36
	v_ffbl_b32_e32 v38, v38
	v_min_u32_e32 v36, v38, v36
	v_add_u32_e32 v49, 1, v40
	v_cmp_le_u32_e32 vcc, v49, v36
	v_mov_b32_e32 v38, v33
	s_and_saveexec_b64 s[8:9], vcc
	s_cbranch_execz .LBB9_55
; %bb.54:
	s_waitcnt lgkmcnt(1)
	v_add_co_u32_e32 v38, vcc, v33, v42
	v_addc_co_u32_e32 v34, vcc, 0, v34, vcc
	v_add_co_u32_e32 v33, vcc, 0, v38
	s_waitcnt lgkmcnt(0)
	v_addc_co_u32_e32 v34, vcc, v41, v34, vcc
.LBB9_55:
	s_or_b64 exec, exec, s[8:9]
	v_cmp_gt_u32_e32 vcc, 62, v39
	s_waitcnt lgkmcnt(0)
	v_cndmask_b32_e64 v41, 0, 2, vcc
	v_add_lshl_u32 v50, v41, v40, 2
	ds_bpermute_b32 v42, v50, v38
	ds_bpermute_b32 v41, v50, v34
	v_add_u32_e32 v51, 2, v40
	v_cmp_le_u32_e32 vcc, v51, v36
	s_and_saveexec_b64 s[8:9], vcc
	s_cbranch_execz .LBB9_57
; %bb.56:
	s_waitcnt lgkmcnt(1)
	v_add_co_u32_e32 v38, vcc, v33, v42
	v_addc_co_u32_e32 v34, vcc, 0, v34, vcc
	v_add_co_u32_e32 v33, vcc, 0, v38
	s_waitcnt lgkmcnt(0)
	v_addc_co_u32_e32 v34, vcc, v41, v34, vcc
.LBB9_57:
	s_or_b64 exec, exec, s[8:9]
	v_cmp_gt_u32_e32 vcc, 60, v39
	s_waitcnt lgkmcnt(0)
	v_cndmask_b32_e64 v41, 0, 4, vcc
	v_add_lshl_u32 v52, v41, v40, 2
	ds_bpermute_b32 v42, v52, v38
	ds_bpermute_b32 v41, v52, v34
	v_add_u32_e32 v53, 4, v40
	v_cmp_le_u32_e32 vcc, v53, v36
	;; [unrolled: 19-line block ×3, first 2 shown]
	s_and_saveexec_b64 s[8:9], vcc
	s_cbranch_execz .LBB9_61
; %bb.60:
	s_waitcnt lgkmcnt(1)
	v_add_co_u32_e32 v38, vcc, v33, v42
	v_addc_co_u32_e32 v34, vcc, 0, v34, vcc
	v_add_co_u32_e32 v33, vcc, 0, v38
	s_waitcnt lgkmcnt(0)
	v_addc_co_u32_e32 v34, vcc, v41, v34, vcc
.LBB9_61:
	s_or_b64 exec, exec, s[8:9]
	v_cmp_gt_u32_e32 vcc, 48, v39
	v_cndmask_b32_e64 v39, 0, 16, vcc
	v_add_lshl_u32 v56, v39, v40, 2
	s_waitcnt lgkmcnt(0)
	ds_bpermute_b32 v41, v56, v38
	ds_bpermute_b32 v39, v56, v34
	v_add_u32_e32 v57, 16, v40
	v_cmp_le_u32_e32 vcc, v57, v36
	s_and_saveexec_b64 s[8:9], vcc
	s_cbranch_execz .LBB9_63
; %bb.62:
	s_waitcnt lgkmcnt(1)
	v_add_co_u32_e32 v38, vcc, v33, v41
	v_addc_co_u32_e32 v34, vcc, 0, v34, vcc
	v_add_co_u32_e32 v33, vcc, 0, v38
	s_waitcnt lgkmcnt(0)
	v_addc_co_u32_e32 v34, vcc, v39, v34, vcc
.LBB9_63:
	s_or_b64 exec, exec, s[8:9]
	s_waitcnt lgkmcnt(0)
	v_mov_b32_e32 v39, 0x80
	v_lshl_or_b32 v58, v40, 2, v39
	ds_bpermute_b32 v39, v58, v38
	v_add_u32_e32 v59, 32, v40
	ds_bpermute_b32 v40, v58, v34
	v_mov_b32_e32 v38, 0
	v_mov_b32_e32 v60, 2
	s_waitcnt lgkmcnt(1)
	v_add_co_u32_e32 v39, vcc, v33, v39
	v_addc_co_u32_e32 v41, vcc, 0, v34, vcc
	v_add_co_u32_e32 v39, vcc, 0, v39
	s_waitcnt lgkmcnt(0)
	v_addc_co_u32_e32 v40, vcc, v41, v40, vcc
	v_cmp_gt_u32_e32 vcc, v59, v36
	v_cndmask_b32_e32 v34, v40, v34, vcc
	v_cndmask_b32_e32 v33, v39, v33, vcc
	s_branch .LBB9_66
.LBB9_64:                               ;   in Loop: Header=BB9_66 Depth=1
	s_or_b64 exec, exec, s[8:9]
	ds_bpermute_b32 v41, v58, v41
	s_waitcnt lgkmcnt(1)
	ds_bpermute_b32 v42, v58, v34
	v_subrev_u32_e32 v37, 64, v37
	s_mov_b64 s[8:9], 0
	s_waitcnt lgkmcnt(1)
	v_add_co_u32_e32 v41, vcc, v33, v41
	v_addc_co_u32_e32 v61, vcc, 0, v34, vcc
	v_add_co_u32_e32 v41, vcc, 0, v41
	s_waitcnt lgkmcnt(0)
	v_addc_co_u32_e32 v42, vcc, v61, v42, vcc
	v_cmp_gt_u32_e32 vcc, v59, v36
	v_cndmask_b32_e32 v33, v41, v33, vcc
	v_cndmask_b32_e32 v34, v42, v34, vcc
	v_add_co_u32_e32 v33, vcc, v33, v39
	v_addc_co_u32_e32 v34, vcc, v34, v40, vcc
.LBB9_65:                               ;   in Loop: Header=BB9_66 Depth=1
	s_and_b64 vcc, exec, s[8:9]
	s_cbranch_vccnz .LBB9_81
.LBB9_66:                               ; =>This Loop Header: Depth=1
                                        ;     Child Loop BB9_69 Depth 2
	v_mov_b32_e32 v40, v34
	v_cmp_ne_u16_sdwa s[8:9], v35, v60 src0_sel:BYTE_0 src1_sel:DWORD
	v_mov_b32_e32 v39, v33
	s_cmp_lg_u64 s[8:9], exec
	s_mov_b64 s[8:9], -1
                                        ; implicit-def: $vgpr33_vgpr34
                                        ; implicit-def: $vgpr35
	s_cbranch_scc1 .LBB9_65
; %bb.67:                               ;   in Loop: Header=BB9_66 Depth=1
	v_lshlrev_b64 v[33:34], 4, v[37:38]
	v_mov_b32_e32 v35, s17
	v_add_co_u32_e32 v41, vcc, s16, v33
	v_addc_co_u32_e32 v42, vcc, v35, v34, vcc
	;;#ASMSTART
	global_load_dwordx4 v[33:36], v[41:42] off glc	
s_waitcnt vmcnt(0)
	;;#ASMEND
	v_cmp_eq_u16_sdwa s[10:11], v35, v38 src0_sel:BYTE_0 src1_sel:DWORD
	s_and_saveexec_b64 s[8:9], s[10:11]
	s_cbranch_execz .LBB9_71
; %bb.68:                               ;   in Loop: Header=BB9_66 Depth=1
	s_mov_b64 s[10:11], 0
.LBB9_69:                               ;   Parent Loop BB9_66 Depth=1
                                        ; =>  This Inner Loop Header: Depth=2
	;;#ASMSTART
	global_load_dwordx4 v[33:36], v[41:42] off glc	
s_waitcnt vmcnt(0)
	;;#ASMEND
	v_cmp_ne_u16_sdwa s[20:21], v35, v38 src0_sel:BYTE_0 src1_sel:DWORD
	s_or_b64 s[10:11], s[20:21], s[10:11]
	s_andn2_b64 exec, exec, s[10:11]
	s_cbranch_execnz .LBB9_69
; %bb.70:                               ;   in Loop: Header=BB9_66 Depth=1
	s_or_b64 exec, exec, s[10:11]
.LBB9_71:                               ;   in Loop: Header=BB9_66 Depth=1
	s_or_b64 exec, exec, s[8:9]
	v_cmp_eq_u16_sdwa s[8:9], v35, v60 src0_sel:BYTE_0 src1_sel:DWORD
	v_and_b32_e32 v36, s9, v32
	v_or_b32_e32 v36, 0x80000000, v36
	ds_bpermute_b32 v61, v48, v33
	ds_bpermute_b32 v42, v48, v34
	v_and_b32_e32 v41, s8, v31
	v_ffbl_b32_e32 v36, v36
	v_add_u32_e32 v36, 32, v36
	v_ffbl_b32_e32 v41, v41
	v_min_u32_e32 v36, v41, v36
	v_cmp_le_u32_e32 vcc, v49, v36
	v_mov_b32_e32 v41, v33
	s_and_saveexec_b64 s[8:9], vcc
	s_cbranch_execz .LBB9_73
; %bb.72:                               ;   in Loop: Header=BB9_66 Depth=1
	s_waitcnt lgkmcnt(1)
	v_add_co_u32_e32 v41, vcc, v33, v61
	v_addc_co_u32_e32 v34, vcc, 0, v34, vcc
	v_add_co_u32_e32 v33, vcc, 0, v41
	s_waitcnt lgkmcnt(0)
	v_addc_co_u32_e32 v34, vcc, v42, v34, vcc
.LBB9_73:                               ;   in Loop: Header=BB9_66 Depth=1
	s_or_b64 exec, exec, s[8:9]
	s_waitcnt lgkmcnt(1)
	ds_bpermute_b32 v61, v50, v41
	s_waitcnt lgkmcnt(1)
	ds_bpermute_b32 v42, v50, v34
	v_cmp_le_u32_e32 vcc, v51, v36
	s_and_saveexec_b64 s[8:9], vcc
	s_cbranch_execz .LBB9_75
; %bb.74:                               ;   in Loop: Header=BB9_66 Depth=1
	s_waitcnt lgkmcnt(1)
	v_add_co_u32_e32 v41, vcc, v33, v61
	v_addc_co_u32_e32 v34, vcc, 0, v34, vcc
	v_add_co_u32_e32 v33, vcc, 0, v41
	s_waitcnt lgkmcnt(0)
	v_addc_co_u32_e32 v34, vcc, v42, v34, vcc
.LBB9_75:                               ;   in Loop: Header=BB9_66 Depth=1
	s_or_b64 exec, exec, s[8:9]
	s_waitcnt lgkmcnt(1)
	ds_bpermute_b32 v61, v52, v41
	s_waitcnt lgkmcnt(1)
	ds_bpermute_b32 v42, v52, v34
	v_cmp_le_u32_e32 vcc, v53, v36
	;; [unrolled: 16-line block ×4, first 2 shown]
	s_and_saveexec_b64 s[8:9], vcc
	s_cbranch_execz .LBB9_64
; %bb.80:                               ;   in Loop: Header=BB9_66 Depth=1
	s_waitcnt lgkmcnt(1)
	v_add_co_u32_e32 v41, vcc, v33, v61
	v_addc_co_u32_e32 v34, vcc, 0, v34, vcc
	v_add_co_u32_e32 v33, vcc, 0, v41
	s_waitcnt lgkmcnt(0)
	v_addc_co_u32_e32 v34, vcc, v42, v34, vcc
	s_branch .LBB9_64
.LBB9_81:
	s_and_saveexec_b64 s[8:9], s[0:1]
	s_cbranch_execz .LBB9_83
; %bb.82:
	s_add_i32 s0, s6, 64
	s_mov_b32 s1, 0
	s_lshl_b64 s[0:1], s[0:1], 4
	s_add_u32 s0, s16, s0
	s_addc_u32 s1, s17, s1
	v_add_co_u32_e32 v29, vcc, v39, v29
	v_mov_b32_e32 v34, s1
	v_addc_co_u32_e32 v30, vcc, v40, v30, vcc
	v_mov_b32_e32 v31, 2
	v_mov_b32_e32 v32, 0
	;; [unrolled: 1-line block ×3, first 2 shown]
	;;#ASMSTART
	global_store_dwordx4 v[33:34], v[29:32] off	
s_waitcnt vmcnt(0)
	;;#ASMEND
.LBB9_83:
	s_or_b64 exec, exec, s[8:9]
	v_cmp_eq_u32_e32 vcc, 0, v0
	s_and_saveexec_b64 s[0:1], vcc
; %bb.84:
	v_mov_b32_e32 v29, 0
	ds_write_b64 v29, v[39:40]
; %bb.85:
	s_or_b64 exec, exec, s[0:1]
	v_mov_b32_e32 v29, 0
	s_waitcnt lgkmcnt(0)
	; wave barrier
	ds_read_b64 v[29:30], v29
	v_cndmask_b32_e64 v32, v46, 0, vcc
	v_cndmask_b32_e64 v31, v47, 0, vcc
	v_add_co_u32_e32 v32, vcc, v32, v25
	v_addc_co_u32_e32 v31, vcc, v31, v26, vcc
	s_waitcnt lgkmcnt(0)
	v_add_co_u32_e32 v29, vcc, v32, v29
	v_addc_co_u32_e32 v30, vcc, v31, v30, vcc
	s_load_dwordx4 s[8:11], s[4:5], 0x38
	s_branch .LBB9_106
.LBB9_86:
                                        ; implicit-def: $vgpr29_vgpr30
	s_load_dwordx4 s[8:11], s[4:5], 0x38
	s_cbranch_execz .LBB9_106
; %bb.87:
	s_load_dword s0, s[4:5], 0x48
	v_cmp_eq_u32_e32 vcc, 0, v0
	s_waitcnt lgkmcnt(0)
	s_bitcmp1_b32 s0, 0
	s_cselect_b64 s[0:1], -1, 0
	s_and_b64 s[0:1], vcc, s[0:1]
	s_and_saveexec_b64 s[6:7], s[0:1]
	s_cbranch_execz .LBB9_89
; %bb.88:
	v_mov_b32_e32 v29, 0
	global_load_dwordx2 v[29:30], v29, s[8:9]
	s_waitcnt vmcnt(0)
	v_add_co_u32_e64 v25, s[0:1], v29, v25
	v_addc_co_u32_e64 v26, s[0:1], v30, v26, s[0:1]
.LBB9_89:
	s_or_b64 exec, exec, s[6:7]
	v_add_co_u32_e64 v29, s[0:1], v21, v27
	v_addc_co_u32_e64 v30, s[0:1], v22, v28, s[0:1]
	v_add_co_u32_e64 v29, s[0:1], v29, v23
	v_addc_co_u32_e64 v30, s[0:1], v30, v24, s[0:1]
	v_add_co_u32_e64 v29, s[0:1], v29, v17
	v_addc_co_u32_e64 v30, s[0:1], v30, v18, s[0:1]
	v_add_co_u32_e64 v29, s[0:1], v29, v19
	v_addc_co_u32_e64 v30, s[0:1], v30, v20, s[0:1]
	v_add_co_u32_e64 v29, s[0:1], v29, v13
	v_addc_co_u32_e64 v30, s[0:1], v30, v14, s[0:1]
	v_add_co_u32_e64 v29, s[0:1], v29, v15
	v_addc_co_u32_e64 v30, s[0:1], v30, v16, s[0:1]
	v_add_co_u32_e64 v29, s[0:1], v29, v9
	v_addc_co_u32_e64 v30, s[0:1], v30, v10, s[0:1]
	v_add_co_u32_e64 v29, s[0:1], v29, v11
	v_addc_co_u32_e64 v30, s[0:1], v30, v12, s[0:1]
	v_add_co_u32_e64 v29, s[0:1], v29, v5
	v_addc_co_u32_e64 v30, s[0:1], v30, v6, s[0:1]
	v_add_co_u32_e64 v29, s[0:1], v29, v7
	v_addc_co_u32_e64 v30, s[0:1], v30, v8, s[0:1]
	v_add_co_u32_e64 v29, s[0:1], v29, v1
	v_addc_co_u32_e64 v30, s[0:1], v30, v2, s[0:1]
	v_add_co_u32_e64 v29, s[0:1], v29, v3
	v_addc_co_u32_e64 v30, s[0:1], v30, v4, s[0:1]
	v_add_co_u32_e64 v29, s[0:1], v29, v25
	v_addc_co_u32_e64 v30, s[0:1], v30, v26, s[0:1]
	v_mbcnt_hi_u32_b32 v33, -1, v45
	v_and_b32_e32 v34, 15, v33
	v_mov_b32_e32 v32, v30
	v_mov_b32_dpp v36, v29 row_shr:1 row_mask:0xf bank_mask:0xf
	v_mov_b32_dpp v35, v30 row_shr:1 row_mask:0xf bank_mask:0xf
	v_cmp_ne_u32_e64 s[0:1], 0, v34
	v_mov_b32_e32 v31, v29
	s_and_saveexec_b64 s[6:7], s[0:1]
; %bb.90:
	v_add_co_u32_e64 v29, s[0:1], v29, v36
	v_addc_co_u32_e64 v30, s[0:1], 0, v30, s[0:1]
	v_add_co_u32_e64 v31, s[0:1], 0, v29
	v_addc_co_u32_e64 v32, s[0:1], v35, v30, s[0:1]
	v_mov_b32_e32 v30, v32
; %bb.91:
	s_or_b64 exec, exec, s[6:7]
	v_mov_b32_dpp v36, v29 row_shr:2 row_mask:0xf bank_mask:0xf
	v_mov_b32_dpp v35, v30 row_shr:2 row_mask:0xf bank_mask:0xf
	v_cmp_lt_u32_e64 s[0:1], 1, v34
	s_and_saveexec_b64 s[6:7], s[0:1]
; %bb.92:
	v_add_co_u32_e64 v29, s[0:1], v31, v36
	v_addc_co_u32_e64 v30, s[0:1], 0, v32, s[0:1]
	v_add_co_u32_e64 v31, s[0:1], 0, v29
	v_addc_co_u32_e64 v32, s[0:1], v35, v30, s[0:1]
	v_mov_b32_e32 v30, v32
; %bb.93:
	s_or_b64 exec, exec, s[6:7]
	v_mov_b32_dpp v36, v29 row_shr:4 row_mask:0xf bank_mask:0xf
	v_mov_b32_dpp v35, v30 row_shr:4 row_mask:0xf bank_mask:0xf
	v_cmp_lt_u32_e64 s[0:1], 3, v34
	;; [unrolled: 12-line block ×3, first 2 shown]
	s_and_saveexec_b64 s[6:7], s[0:1]
; %bb.96:
	v_add_co_u32_e64 v29, s[0:1], v31, v36
	v_addc_co_u32_e64 v30, s[0:1], 0, v32, s[0:1]
	v_add_co_u32_e64 v31, s[0:1], 0, v29
	v_addc_co_u32_e64 v32, s[0:1], v35, v30, s[0:1]
	v_mov_b32_e32 v30, v32
; %bb.97:
	s_or_b64 exec, exec, s[6:7]
	v_and_b32_e32 v36, 16, v33
	v_mov_b32_dpp v35, v29 row_bcast:15 row_mask:0xf bank_mask:0xf
	v_mov_b32_dpp v34, v30 row_bcast:15 row_mask:0xf bank_mask:0xf
	v_cmp_ne_u32_e64 s[0:1], 0, v36
	s_and_saveexec_b64 s[6:7], s[0:1]
; %bb.98:
	v_add_co_u32_e64 v29, s[0:1], v31, v35
	v_addc_co_u32_e64 v30, s[0:1], 0, v32, s[0:1]
	v_add_co_u32_e64 v31, s[0:1], 0, v29
	v_addc_co_u32_e64 v32, s[0:1], v34, v30, s[0:1]
	v_mov_b32_e32 v30, v32
; %bb.99:
	s_or_b64 exec, exec, s[6:7]
	v_mov_b32_dpp v35, v29 row_bcast:31 row_mask:0xf bank_mask:0xf
	v_mov_b32_dpp v34, v30 row_bcast:31 row_mask:0xf bank_mask:0xf
	v_cmp_lt_u32_e64 s[0:1], 31, v33
	s_and_saveexec_b64 s[6:7], s[0:1]
; %bb.100:
	v_add_co_u32_e64 v29, s[0:1], v31, v35
	v_addc_co_u32_e64 v30, s[0:1], 0, v32, s[0:1]
	v_add_co_u32_e64 v31, s[0:1], 0, v29
	v_addc_co_u32_e64 v32, s[0:1], v34, v30, s[0:1]
	v_mov_b32_e32 v30, v32
; %bb.101:
	s_or_b64 exec, exec, s[6:7]
	v_cmp_eq_u32_e64 s[0:1], 63, v0
	s_and_saveexec_b64 s[6:7], s[0:1]
; %bb.102:
	v_mov_b32_e32 v34, 0
	ds_write_b64 v34, v[31:32]
; %bb.103:
	s_or_b64 exec, exec, s[6:7]
	v_add_u32_e32 v31, -1, v33
	v_and_b32_e32 v32, 64, v33
	v_cmp_lt_i32_e64 s[0:1], v31, v32
	v_cndmask_b32_e64 v31, v31, v33, s[0:1]
	v_lshlrev_b32_e32 v31, 2, v31
	ds_bpermute_b32 v29, v31, v29
	ds_bpermute_b32 v30, v31, v30
	s_waitcnt lgkmcnt(0)
	; wave barrier
	v_cndmask_b32_e64 v29, v29, 0, vcc
	v_cndmask_b32_e64 v30, v30, 0, vcc
	v_add_co_u32_e64 v29, s[0:1], v29, v25
	v_addc_co_u32_e64 v30, s[0:1], v30, v26, s[0:1]
	s_and_saveexec_b64 s[0:1], vcc
	s_cbranch_execz .LBB9_105
; %bb.104:
	s_add_u32 s6, s16, 0x400
	s_addc_u32 s7, s17, 0
	v_mov_b32_e32 v34, 0
	v_mov_b32_e32 v26, s7
	ds_read_b64 v[31:32], v34
	v_mov_b32_e32 v33, 2
	v_mov_b32_e32 v25, s6
	s_waitcnt lgkmcnt(0)
	;;#ASMSTART
	global_store_dwordx4 v[25:26], v[31:34] off	
s_waitcnt vmcnt(0)
	;;#ASMEND
.LBB9_105:
	s_or_b64 exec, exec, s[0:1]
.LBB9_106:
	v_add_co_u32_e32 v31, vcc, v29, v27
	v_addc_co_u32_e32 v32, vcc, v30, v28, vcc
	v_add_co_u32_e32 v21, vcc, v31, v21
	v_addc_co_u32_e32 v22, vcc, v32, v22, vcc
	;; [unrolled: 2-line block ×13, first 2 shown]
	s_add_u32 s0, s2, s14
	s_addc_u32 s1, s3, s15
	s_mov_b64 s[2:3], -1
	s_and_b64 vcc, exec, s[12:13]
	s_waitcnt lgkmcnt(0)
	; wave barrier
	s_cbranch_vccz .LBB9_108
; %bb.107:
	ds_write_b128 v44, v[29:32]
	ds_write_b128 v44, v[21:24] offset:16
	ds_write_b128 v44, v[17:20] offset:32
	;; [unrolled: 1-line block ×6, first 2 shown]
	s_waitcnt lgkmcnt(0)
	; wave barrier
	ds_read2st64_b64 v[25:28], v43 offset1:1
	ds_read2st64_b64 v[33:36], v43 offset0:2 offset1:3
	ds_read2st64_b64 v[37:40], v43 offset0:4 offset1:5
	;; [unrolled: 1-line block ×6, first 2 shown]
	v_mov_b32_e32 v41, s1
	v_add_co_u32_e32 v42, vcc, s0, v43
	v_addc_co_u32_e32 v41, vcc, 0, v41, vcc
	s_waitcnt lgkmcnt(6)
	global_store_dwordx2 v43, v[25:26], s[0:1]
	global_store_dwordx2 v43, v[27:28], s[0:1] offset:512
	s_waitcnt lgkmcnt(5)
	global_store_dwordx2 v43, v[33:34], s[0:1] offset:1024
	global_store_dwordx2 v43, v[35:36], s[0:1] offset:1536
	s_waitcnt lgkmcnt(4)
	global_store_dwordx2 v43, v[37:38], s[0:1] offset:2048
	;; [unrolled: 3-line block ×3, first 2 shown]
	global_store_dwordx2 v43, v[47:48], s[0:1] offset:3584
	v_add_co_u32_e32 v25, vcc, 0x1000, v42
	v_addc_co_u32_e32 v26, vcc, 0, v41, vcc
	s_waitcnt lgkmcnt(2)
	global_store_dwordx2 v[25:26], v[49:50], off
	global_store_dwordx2 v[25:26], v[51:52], off offset:512
	s_waitcnt lgkmcnt(1)
	global_store_dwordx2 v[25:26], v[53:54], off offset:1024
	global_store_dwordx2 v[25:26], v[55:56], off offset:1536
	s_waitcnt lgkmcnt(0)
	global_store_dwordx2 v[25:26], v[57:58], off offset:2048
	global_store_dwordx2 v[25:26], v[59:60], off offset:2560
	s_mov_b64 s[2:3], 0
.LBB9_108:
	s_andn2_b64 vcc, exec, s[2:3]
	s_cbranch_vccnz .LBB9_188
; %bb.109:
	ds_write_b128 v44, v[29:32]
	ds_write_b128 v44, v[21:24] offset:16
	ds_write_b128 v44, v[17:20] offset:32
	ds_write_b128 v44, v[13:16] offset:48
	ds_write_b128 v44, v[9:12] offset:64
	ds_write_b128 v44, v[5:8] offset:80
	ds_write_b128 v44, v[1:4] offset:96
	s_waitcnt lgkmcnt(0)
	; wave barrier
	ds_read2st64_b64 v[6:9], v43 offset1:1
	ds_read2st64_b64 v[10:13], v43 offset0:2 offset1:3
	ds_read2st64_b64 v[14:17], v43 offset0:4 offset1:5
	;; [unrolled: 1-line block ×6, first 2 shown]
	v_mov_b32_e32 v31, s1
	v_add_co_u32_e32 v30, vcc, s0, v43
	v_addc_co_u32_e32 v31, vcc, 0, v31, vcc
	v_mov_b32_e32 v1, 0
	v_cmp_gt_u32_e32 vcc, s18, v0
	s_and_saveexec_b64 s[0:1], vcc
	s_cbranch_execz .LBB9_111
; %bb.110:
	s_waitcnt lgkmcnt(6)
	global_store_dwordx2 v[30:31], v[6:7], off
.LBB9_111:
	s_or_b64 exec, exec, s[0:1]
	v_or_b32_e32 v32, 64, v0
	v_cmp_gt_u32_e32 vcc, s18, v32
	s_and_saveexec_b64 s[0:1], vcc
	s_cbranch_execz .LBB9_113
; %bb.112:
	s_waitcnt lgkmcnt(6)
	global_store_dwordx2 v[30:31], v[8:9], off offset:512
.LBB9_113:
	s_or_b64 exec, exec, s[0:1]
	v_or_b32_e32 v32, 0x80, v0
	v_cmp_gt_u32_e32 vcc, s18, v32
	s_and_saveexec_b64 s[0:1], vcc
	s_cbranch_execz .LBB9_115
; %bb.114:
	s_waitcnt lgkmcnt(5)
	global_store_dwordx2 v[30:31], v[10:11], off offset:1024
.LBB9_115:
	;; [unrolled: 9-line block ×7, first 2 shown]
	s_or_b64 exec, exec, s[0:1]
	v_or_b32_e32 v32, 0x200, v0
	v_cmp_gt_u32_e32 vcc, s18, v32
	s_and_saveexec_b64 s[0:1], vcc
	s_cbranch_execz .LBB9_127
; %bb.126:
	v_add_co_u32_e32 v32, vcc, 0x1000, v30
	v_addc_co_u32_e32 v33, vcc, 0, v31, vcc
	s_waitcnt lgkmcnt(2)
	global_store_dwordx2 v[32:33], v[22:23], off
.LBB9_127:
	s_or_b64 exec, exec, s[0:1]
	v_or_b32_e32 v32, 0x240, v0
	v_cmp_gt_u32_e32 vcc, s18, v32
	s_and_saveexec_b64 s[0:1], vcc
	s_cbranch_execz .LBB9_129
; %bb.128:
	v_add_co_u32_e32 v32, vcc, 0x1000, v30
	v_addc_co_u32_e32 v33, vcc, 0, v31, vcc
	s_waitcnt lgkmcnt(2)
	global_store_dwordx2 v[32:33], v[24:25], off offset:512
.LBB9_129:
	s_or_b64 exec, exec, s[0:1]
	v_or_b32_e32 v32, 0x280, v0
	v_cmp_gt_u32_e32 vcc, s18, v32
	s_and_saveexec_b64 s[0:1], vcc
	s_cbranch_execz .LBB9_131
; %bb.130:
	v_add_co_u32_e32 v32, vcc, 0x1000, v30
	v_addc_co_u32_e32 v33, vcc, 0, v31, vcc
	s_waitcnt lgkmcnt(1)
	global_store_dwordx2 v[32:33], v[18:19], off offset:1024
.LBB9_131:
	;; [unrolled: 11-line block ×5, first 2 shown]
	s_or_b64 exec, exec, s[0:1]
	s_load_dword s0, s[4:5], 0x48
	s_waitcnt lgkmcnt(0)
	s_bfe_u32 s0, s0, 0x10008
	s_cmp_eq_u32 s0, 0
	s_cbranch_scc1 .LBB9_188
; %bb.138:
	s_add_u32 s0, s18, -1
	s_addc_u32 s1, s19, -1
	s_lshr_b64 s[2:3], s[0:1], 1
	s_lshr_b32 s5, s1, 1
	s_mul_hi_u32 s3, s2, 0x49249249
	s_mul_i32 s4, s2, 0x49249249
	s_mul_i32 s7, s5, 0x24924925
	s_mul_hi_u32 s2, s2, 0x24924925
	s_mul_hi_u32 s6, s5, 0x24924925
	s_add_u32 s2, s7, s2
	s_addc_u32 s6, s6, 0
	s_add_u32 s2, s4, s2
	s_addc_u32 s2, s3, 0
	;; [unrolled: 2-line block ×3, first 2 shown]
	s_mul_hi_u32 s4, s5, 0x49249249
	s_mul_i32 s5, s5, 0x49249249
	s_add_u32 s2, s5, s2
	s_addc_u32 s3, s4, s3
	s_lshr_b64 s[2:3], s[2:3], 1
	v_cmp_eq_u64_e32 vcc, s[2:3], v[0:1]
	s_and_saveexec_b64 s[2:3], vcc
	s_cbranch_execz .LBB9_188
; %bb.139:
	v_mul_hi_u32_u24_e32 v1, 14, v0
	v_mul_u32_u24_e32 v0, 14, v0
	v_mov_b32_e32 v30, s1
	v_sub_co_u32_e32 v0, vcc, s0, v0
	v_subb_co_u32_e32 v1, vcc, v30, v1, vcc
	v_cmp_lt_i64_e32 vcc, 6, v[0:1]
	s_and_saveexec_b64 s[0:1], vcc
	s_xor_b64 s[0:1], exec, s[0:1]
	s_cbranch_execz .LBB9_165
; %bb.140:
	v_cmp_lt_i64_e32 vcc, 9, v[0:1]
	s_and_saveexec_b64 s[2:3], vcc
	s_xor_b64 s[2:3], exec, s[2:3]
	s_cbranch_execz .LBB9_154
; %bb.141:
	;; [unrolled: 5-line block ×4, first 2 shown]
	v_mov_b32_e32 v0, 0
	global_store_dwordx2 v0, v[28:29], s[10:11]
                                        ; implicit-def: $vgpr26_vgpr27_vgpr28_vgpr29
.LBB9_144:
	s_andn2_saveexec_b64 s[6:7], s[6:7]
	s_cbranch_execz .LBB9_146
; %bb.145:
	v_mov_b32_e32 v0, 0
	global_store_dwordx2 v0, v[26:27], s[10:11]
.LBB9_146:
	s_or_b64 exec, exec, s[6:7]
                                        ; implicit-def: $vgpr18_vgpr19_vgpr20_vgpr21
                                        ; implicit-def: $vgpr0_vgpr1
.LBB9_147:
	s_andn2_saveexec_b64 s[4:5], s[4:5]
	s_cbranch_execz .LBB9_153
; %bb.148:
	v_cmp_lt_i64_e32 vcc, 10, v[0:1]
	s_and_saveexec_b64 s[6:7], vcc
	s_xor_b64 s[6:7], exec, s[6:7]
	s_cbranch_execz .LBB9_150
; %bb.149:
	v_mov_b32_e32 v0, 0
	global_store_dwordx2 v0, v[20:21], s[10:11]
                                        ; implicit-def: $vgpr18_vgpr19_vgpr20_vgpr21
.LBB9_150:
	s_andn2_saveexec_b64 s[6:7], s[6:7]
	s_cbranch_execz .LBB9_152
; %bb.151:
	v_mov_b32_e32 v0, 0
	global_store_dwordx2 v0, v[18:19], s[10:11]
.LBB9_152:
	s_or_b64 exec, exec, s[6:7]
.LBB9_153:
	s_or_b64 exec, exec, s[4:5]
                                        ; implicit-def: $vgpr2_vgpr3_vgpr4_vgpr5
                                        ; implicit-def: $vgpr0_vgpr1
                                        ; implicit-def: $vgpr22_vgpr23_vgpr24_vgpr25
.LBB9_154:
	s_andn2_saveexec_b64 s[2:3], s[2:3]
	s_cbranch_execz .LBB9_164
; %bb.155:
	v_cmp_lt_i64_e32 vcc, 7, v[0:1]
	s_and_saveexec_b64 s[4:5], vcc
	s_xor_b64 s[4:5], exec, s[4:5]
	s_cbranch_execz .LBB9_161
; %bb.156:
	v_cmp_lt_i64_e32 vcc, 8, v[0:1]
	s_and_saveexec_b64 s[6:7], vcc
	s_xor_b64 s[6:7], exec, s[6:7]
	s_cbranch_execz .LBB9_158
; %bb.157:
	v_mov_b32_e32 v0, 0
	global_store_dwordx2 v0, v[24:25], s[10:11]
                                        ; implicit-def: $vgpr22_vgpr23_vgpr24_vgpr25
.LBB9_158:
	s_andn2_saveexec_b64 s[6:7], s[6:7]
	s_cbranch_execz .LBB9_160
; %bb.159:
	v_mov_b32_e32 v0, 0
	global_store_dwordx2 v0, v[22:23], s[10:11]
.LBB9_160:
	s_or_b64 exec, exec, s[6:7]
                                        ; implicit-def: $vgpr2_vgpr3_vgpr4_vgpr5
.LBB9_161:
	s_andn2_saveexec_b64 s[4:5], s[4:5]
	s_cbranch_execz .LBB9_163
; %bb.162:
	v_mov_b32_e32 v0, 0
	global_store_dwordx2 v0, v[4:5], s[10:11]
.LBB9_163:
	s_or_b64 exec, exec, s[4:5]
.LBB9_164:
	s_or_b64 exec, exec, s[2:3]
                                        ; implicit-def: $vgpr0_vgpr1
                                        ; implicit-def: $vgpr14_vgpr15_vgpr16_vgpr17
                                        ; implicit-def: $vgpr6_vgpr7_vgpr8_vgpr9
                                        ; implicit-def: $vgpr10_vgpr11_vgpr12_vgpr13
                                        ; implicit-def: $vgpr2_vgpr3_vgpr4_vgpr5
.LBB9_165:
	s_andn2_saveexec_b64 s[0:1], s[0:1]
	s_cbranch_execz .LBB9_188
; %bb.166:
	v_cmp_lt_i64_e32 vcc, 3, v[0:1]
	s_and_saveexec_b64 s[0:1], vcc
	s_xor_b64 s[0:1], exec, s[0:1]
	s_cbranch_execz .LBB9_176
; %bb.167:
	v_cmp_lt_i64_e32 vcc, 4, v[0:1]
	s_and_saveexec_b64 s[2:3], vcc
	s_xor_b64 s[2:3], exec, s[2:3]
	s_cbranch_execz .LBB9_173
; %bb.168:
	v_cmp_lt_i64_e32 vcc, 5, v[0:1]
	s_and_saveexec_b64 s[4:5], vcc
	s_xor_b64 s[4:5], exec, s[4:5]
	s_cbranch_execz .LBB9_170
; %bb.169:
	v_mov_b32_e32 v0, 0
	global_store_dwordx2 v0, v[2:3], s[10:11]
                                        ; implicit-def: $vgpr14_vgpr15_vgpr16_vgpr17
.LBB9_170:
	s_andn2_saveexec_b64 s[4:5], s[4:5]
	s_cbranch_execz .LBB9_172
; %bb.171:
	v_mov_b32_e32 v0, 0
	global_store_dwordx2 v0, v[16:17], s[10:11]
.LBB9_172:
	s_or_b64 exec, exec, s[4:5]
                                        ; implicit-def: $vgpr14_vgpr15_vgpr16_vgpr17
.LBB9_173:
	s_andn2_saveexec_b64 s[2:3], s[2:3]
	s_cbranch_execz .LBB9_175
; %bb.174:
	v_mov_b32_e32 v0, 0
	global_store_dwordx2 v0, v[14:15], s[10:11]
.LBB9_175:
	s_or_b64 exec, exec, s[2:3]
                                        ; implicit-def: $vgpr0_vgpr1
                                        ; implicit-def: $vgpr6_vgpr7_vgpr8_vgpr9
                                        ; implicit-def: $vgpr10_vgpr11_vgpr12_vgpr13
.LBB9_176:
	s_andn2_saveexec_b64 s[0:1], s[0:1]
	s_cbranch_execz .LBB9_188
; %bb.177:
	v_cmp_lt_i64_e32 vcc, 1, v[0:1]
	s_and_saveexec_b64 s[0:1], vcc
	s_xor_b64 s[0:1], exec, s[0:1]
	s_cbranch_execz .LBB9_183
; %bb.178:
	v_cmp_lt_i64_e32 vcc, 2, v[0:1]
	s_and_saveexec_b64 s[2:3], vcc
	s_xor_b64 s[2:3], exec, s[2:3]
	s_cbranch_execz .LBB9_180
; %bb.179:
	v_mov_b32_e32 v0, 0
	global_store_dwordx2 v0, v[12:13], s[10:11]
                                        ; implicit-def: $vgpr10_vgpr11_vgpr12_vgpr13
.LBB9_180:
	s_andn2_saveexec_b64 s[2:3], s[2:3]
	s_cbranch_execz .LBB9_182
; %bb.181:
	v_mov_b32_e32 v0, 0
	global_store_dwordx2 v0, v[10:11], s[10:11]
.LBB9_182:
	s_or_b64 exec, exec, s[2:3]
                                        ; implicit-def: $vgpr6_vgpr7_vgpr8_vgpr9
                                        ; implicit-def: $vgpr0_vgpr1
.LBB9_183:
	s_andn2_saveexec_b64 s[0:1], s[0:1]
	s_cbranch_execz .LBB9_188
; %bb.184:
	v_cmp_ne_u64_e32 vcc, 1, v[0:1]
	s_and_saveexec_b64 s[0:1], vcc
	s_xor_b64 s[0:1], exec, s[0:1]
	s_cbranch_execz .LBB9_186
; %bb.185:
	v_mov_b32_e32 v0, 0
	global_store_dwordx2 v0, v[6:7], s[10:11]
                                        ; implicit-def: $vgpr6_vgpr7_vgpr8_vgpr9
.LBB9_186:
	s_andn2_saveexec_b64 s[0:1], s[0:1]
	s_cbranch_execz .LBB9_188
; %bb.187:
	v_mov_b32_e32 v0, 0
	global_store_dwordx2 v0, v[8:9], s[10:11]
.LBB9_188:
	s_endpgm
	.section	.rodata,"a",@progbits
	.p2align	6, 0x0
	.amdhsa_kernel _ZN7rocprim17ROCPRIM_304000_NS6detail20lookback_scan_kernelILNS1_25lookback_scan_determinismE0ELb0ENS1_19wrapped_scan_configINS0_14default_configElEEPKlPlSt4plusIvEllNS1_19lookback_scan_stateIlLb0ELb1EEEEEvT2_T3_mT5_T4_T7_jPT6_SK_bb
		.amdhsa_group_segment_fixed_size 7168
		.amdhsa_private_segment_fixed_size 0
		.amdhsa_kernarg_size 76
		.amdhsa_user_sgpr_count 6
		.amdhsa_user_sgpr_private_segment_buffer 1
		.amdhsa_user_sgpr_dispatch_ptr 0
		.amdhsa_user_sgpr_queue_ptr 0
		.amdhsa_user_sgpr_kernarg_segment_ptr 1
		.amdhsa_user_sgpr_dispatch_id 0
		.amdhsa_user_sgpr_flat_scratch_init 0
		.amdhsa_user_sgpr_private_segment_size 0
		.amdhsa_uses_dynamic_stack 0
		.amdhsa_system_sgpr_private_segment_wavefront_offset 0
		.amdhsa_system_sgpr_workgroup_id_x 1
		.amdhsa_system_sgpr_workgroup_id_y 0
		.amdhsa_system_sgpr_workgroup_id_z 0
		.amdhsa_system_sgpr_workgroup_info 0
		.amdhsa_system_vgpr_workitem_id 0
		.amdhsa_next_free_vgpr 65
		.amdhsa_next_free_sgpr 98
		.amdhsa_reserve_vcc 1
		.amdhsa_reserve_flat_scratch 0
		.amdhsa_float_round_mode_32 0
		.amdhsa_float_round_mode_16_64 0
		.amdhsa_float_denorm_mode_32 3
		.amdhsa_float_denorm_mode_16_64 3
		.amdhsa_dx10_clamp 1
		.amdhsa_ieee_mode 1
		.amdhsa_fp16_overflow 0
		.amdhsa_exception_fp_ieee_invalid_op 0
		.amdhsa_exception_fp_denorm_src 0
		.amdhsa_exception_fp_ieee_div_zero 0
		.amdhsa_exception_fp_ieee_overflow 0
		.amdhsa_exception_fp_ieee_underflow 0
		.amdhsa_exception_fp_ieee_inexact 0
		.amdhsa_exception_int_div_zero 0
	.end_amdhsa_kernel
	.section	.text._ZN7rocprim17ROCPRIM_304000_NS6detail20lookback_scan_kernelILNS1_25lookback_scan_determinismE0ELb0ENS1_19wrapped_scan_configINS0_14default_configElEEPKlPlSt4plusIvEllNS1_19lookback_scan_stateIlLb0ELb1EEEEEvT2_T3_mT5_T4_T7_jPT6_SK_bb,"axG",@progbits,_ZN7rocprim17ROCPRIM_304000_NS6detail20lookback_scan_kernelILNS1_25lookback_scan_determinismE0ELb0ENS1_19wrapped_scan_configINS0_14default_configElEEPKlPlSt4plusIvEllNS1_19lookback_scan_stateIlLb0ELb1EEEEEvT2_T3_mT5_T4_T7_jPT6_SK_bb,comdat
.Lfunc_end9:
	.size	_ZN7rocprim17ROCPRIM_304000_NS6detail20lookback_scan_kernelILNS1_25lookback_scan_determinismE0ELb0ENS1_19wrapped_scan_configINS0_14default_configElEEPKlPlSt4plusIvEllNS1_19lookback_scan_stateIlLb0ELb1EEEEEvT2_T3_mT5_T4_T7_jPT6_SK_bb, .Lfunc_end9-_ZN7rocprim17ROCPRIM_304000_NS6detail20lookback_scan_kernelILNS1_25lookback_scan_determinismE0ELb0ENS1_19wrapped_scan_configINS0_14default_configElEEPKlPlSt4plusIvEllNS1_19lookback_scan_stateIlLb0ELb1EEEEEvT2_T3_mT5_T4_T7_jPT6_SK_bb
                                        ; -- End function
	.set _ZN7rocprim17ROCPRIM_304000_NS6detail20lookback_scan_kernelILNS1_25lookback_scan_determinismE0ELb0ENS1_19wrapped_scan_configINS0_14default_configElEEPKlPlSt4plusIvEllNS1_19lookback_scan_stateIlLb0ELb1EEEEEvT2_T3_mT5_T4_T7_jPT6_SK_bb.num_vgpr, 62
	.set _ZN7rocprim17ROCPRIM_304000_NS6detail20lookback_scan_kernelILNS1_25lookback_scan_determinismE0ELb0ENS1_19wrapped_scan_configINS0_14default_configElEEPKlPlSt4plusIvEllNS1_19lookback_scan_stateIlLb0ELb1EEEEEvT2_T3_mT5_T4_T7_jPT6_SK_bb.num_agpr, 0
	.set _ZN7rocprim17ROCPRIM_304000_NS6detail20lookback_scan_kernelILNS1_25lookback_scan_determinismE0ELb0ENS1_19wrapped_scan_configINS0_14default_configElEEPKlPlSt4plusIvEllNS1_19lookback_scan_stateIlLb0ELb1EEEEEvT2_T3_mT5_T4_T7_jPT6_SK_bb.numbered_sgpr, 22
	.set _ZN7rocprim17ROCPRIM_304000_NS6detail20lookback_scan_kernelILNS1_25lookback_scan_determinismE0ELb0ENS1_19wrapped_scan_configINS0_14default_configElEEPKlPlSt4plusIvEllNS1_19lookback_scan_stateIlLb0ELb1EEEEEvT2_T3_mT5_T4_T7_jPT6_SK_bb.num_named_barrier, 0
	.set _ZN7rocprim17ROCPRIM_304000_NS6detail20lookback_scan_kernelILNS1_25lookback_scan_determinismE0ELb0ENS1_19wrapped_scan_configINS0_14default_configElEEPKlPlSt4plusIvEllNS1_19lookback_scan_stateIlLb0ELb1EEEEEvT2_T3_mT5_T4_T7_jPT6_SK_bb.private_seg_size, 0
	.set _ZN7rocprim17ROCPRIM_304000_NS6detail20lookback_scan_kernelILNS1_25lookback_scan_determinismE0ELb0ENS1_19wrapped_scan_configINS0_14default_configElEEPKlPlSt4plusIvEllNS1_19lookback_scan_stateIlLb0ELb1EEEEEvT2_T3_mT5_T4_T7_jPT6_SK_bb.uses_vcc, 1
	.set _ZN7rocprim17ROCPRIM_304000_NS6detail20lookback_scan_kernelILNS1_25lookback_scan_determinismE0ELb0ENS1_19wrapped_scan_configINS0_14default_configElEEPKlPlSt4plusIvEllNS1_19lookback_scan_stateIlLb0ELb1EEEEEvT2_T3_mT5_T4_T7_jPT6_SK_bb.uses_flat_scratch, 0
	.set _ZN7rocprim17ROCPRIM_304000_NS6detail20lookback_scan_kernelILNS1_25lookback_scan_determinismE0ELb0ENS1_19wrapped_scan_configINS0_14default_configElEEPKlPlSt4plusIvEllNS1_19lookback_scan_stateIlLb0ELb1EEEEEvT2_T3_mT5_T4_T7_jPT6_SK_bb.has_dyn_sized_stack, 0
	.set _ZN7rocprim17ROCPRIM_304000_NS6detail20lookback_scan_kernelILNS1_25lookback_scan_determinismE0ELb0ENS1_19wrapped_scan_configINS0_14default_configElEEPKlPlSt4plusIvEllNS1_19lookback_scan_stateIlLb0ELb1EEEEEvT2_T3_mT5_T4_T7_jPT6_SK_bb.has_recursion, 0
	.set _ZN7rocprim17ROCPRIM_304000_NS6detail20lookback_scan_kernelILNS1_25lookback_scan_determinismE0ELb0ENS1_19wrapped_scan_configINS0_14default_configElEEPKlPlSt4plusIvEllNS1_19lookback_scan_stateIlLb0ELb1EEEEEvT2_T3_mT5_T4_T7_jPT6_SK_bb.has_indirect_call, 0
	.section	.AMDGPU.csdata,"",@progbits
; Kernel info:
; codeLenInByte = 5800
; TotalNumSgprs: 26
; NumVgprs: 62
; ScratchSize: 0
; MemoryBound: 0
; FloatMode: 240
; IeeeMode: 1
; LDSByteSize: 7168 bytes/workgroup (compile time only)
; SGPRBlocks: 12
; VGPRBlocks: 16
; NumSGPRsForWavesPerEU: 102
; NumVGPRsForWavesPerEU: 65
; Occupancy: 3
; WaveLimiterHint : 1
; COMPUTE_PGM_RSRC2:SCRATCH_EN: 0
; COMPUTE_PGM_RSRC2:USER_SGPR: 6
; COMPUTE_PGM_RSRC2:TRAP_HANDLER: 0
; COMPUTE_PGM_RSRC2:TGID_X_EN: 1
; COMPUTE_PGM_RSRC2:TGID_Y_EN: 0
; COMPUTE_PGM_RSRC2:TGID_Z_EN: 0
; COMPUTE_PGM_RSRC2:TIDIG_COMP_CNT: 0
	.section	.text._ZN7rocprim17ROCPRIM_304000_NS6detail16transform_kernelINS1_24wrapped_transform_configINS0_14default_configElEElPlS6_NS0_8identityIlEEEEvT1_mT2_T3_,"axG",@progbits,_ZN7rocprim17ROCPRIM_304000_NS6detail16transform_kernelINS1_24wrapped_transform_configINS0_14default_configElEElPlS6_NS0_8identityIlEEEEvT1_mT2_T3_,comdat
	.protected	_ZN7rocprim17ROCPRIM_304000_NS6detail16transform_kernelINS1_24wrapped_transform_configINS0_14default_configElEElPlS6_NS0_8identityIlEEEEvT1_mT2_T3_ ; -- Begin function _ZN7rocprim17ROCPRIM_304000_NS6detail16transform_kernelINS1_24wrapped_transform_configINS0_14default_configElEElPlS6_NS0_8identityIlEEEEvT1_mT2_T3_
	.globl	_ZN7rocprim17ROCPRIM_304000_NS6detail16transform_kernelINS1_24wrapped_transform_configINS0_14default_configElEElPlS6_NS0_8identityIlEEEEvT1_mT2_T3_
	.p2align	8
	.type	_ZN7rocprim17ROCPRIM_304000_NS6detail16transform_kernelINS1_24wrapped_transform_configINS0_14default_configElEElPlS6_NS0_8identityIlEEEEvT1_mT2_T3_,@function
_ZN7rocprim17ROCPRIM_304000_NS6detail16transform_kernelINS1_24wrapped_transform_configINS0_14default_configElEElPlS6_NS0_8identityIlEEEEvT1_mT2_T3_: ; @_ZN7rocprim17ROCPRIM_304000_NS6detail16transform_kernelINS1_24wrapped_transform_configINS0_14default_configElEElPlS6_NS0_8identityIlEEEEvT1_mT2_T3_
; %bb.0:
	s_load_dword s7, s[4:5], 0x20
	s_load_dwordx4 s[0:3], s[4:5], 0x0
	s_lshl_b32 s8, s6, 9
	s_waitcnt lgkmcnt(0)
	s_add_i32 s7, s7, -1
	s_cmp_lg_u32 s6, s7
	s_cselect_b64 s[6:7], -1, 0
	s_sub_i32 s2, s2, s8
	v_cmp_gt_u32_e32 vcc, s2, v0
	s_or_b64 s[2:3], vcc, s[6:7]
	s_and_saveexec_b64 s[6:7], s[2:3]
	s_cbranch_execz .LBB10_2
; %bb.1:
	s_load_dwordx2 s[2:3], s[4:5], 0x10
	s_mov_b32 s9, 0
	s_lshl_b64 s[4:5], s[8:9], 3
	v_lshlrev_b32_e32 v2, 3, v0
	s_waitcnt lgkmcnt(0)
	s_add_u32 s2, s2, s4
	s_addc_u32 s3, s3, s5
	s_add_u32 s0, s0, s4
	s_addc_u32 s1, s1, s5
	global_load_dwordx2 v[0:1], v2, s[0:1]
	s_waitcnt vmcnt(0)
	global_store_dwordx2 v2, v[0:1], s[2:3]
.LBB10_2:
	s_endpgm
	.section	.rodata,"a",@progbits
	.p2align	6, 0x0
	.amdhsa_kernel _ZN7rocprim17ROCPRIM_304000_NS6detail16transform_kernelINS1_24wrapped_transform_configINS0_14default_configElEElPlS6_NS0_8identityIlEEEEvT1_mT2_T3_
		.amdhsa_group_segment_fixed_size 0
		.amdhsa_private_segment_fixed_size 0
		.amdhsa_kernarg_size 288
		.amdhsa_user_sgpr_count 6
		.amdhsa_user_sgpr_private_segment_buffer 1
		.amdhsa_user_sgpr_dispatch_ptr 0
		.amdhsa_user_sgpr_queue_ptr 0
		.amdhsa_user_sgpr_kernarg_segment_ptr 1
		.amdhsa_user_sgpr_dispatch_id 0
		.amdhsa_user_sgpr_flat_scratch_init 0
		.amdhsa_user_sgpr_private_segment_size 0
		.amdhsa_uses_dynamic_stack 0
		.amdhsa_system_sgpr_private_segment_wavefront_offset 0
		.amdhsa_system_sgpr_workgroup_id_x 1
		.amdhsa_system_sgpr_workgroup_id_y 0
		.amdhsa_system_sgpr_workgroup_id_z 0
		.amdhsa_system_sgpr_workgroup_info 0
		.amdhsa_system_vgpr_workitem_id 0
		.amdhsa_next_free_vgpr 3
		.amdhsa_next_free_sgpr 10
		.amdhsa_reserve_vcc 1
		.amdhsa_reserve_flat_scratch 0
		.amdhsa_float_round_mode_32 0
		.amdhsa_float_round_mode_16_64 0
		.amdhsa_float_denorm_mode_32 3
		.amdhsa_float_denorm_mode_16_64 3
		.amdhsa_dx10_clamp 1
		.amdhsa_ieee_mode 1
		.amdhsa_fp16_overflow 0
		.amdhsa_exception_fp_ieee_invalid_op 0
		.amdhsa_exception_fp_denorm_src 0
		.amdhsa_exception_fp_ieee_div_zero 0
		.amdhsa_exception_fp_ieee_overflow 0
		.amdhsa_exception_fp_ieee_underflow 0
		.amdhsa_exception_fp_ieee_inexact 0
		.amdhsa_exception_int_div_zero 0
	.end_amdhsa_kernel
	.section	.text._ZN7rocprim17ROCPRIM_304000_NS6detail16transform_kernelINS1_24wrapped_transform_configINS0_14default_configElEElPlS6_NS0_8identityIlEEEEvT1_mT2_T3_,"axG",@progbits,_ZN7rocprim17ROCPRIM_304000_NS6detail16transform_kernelINS1_24wrapped_transform_configINS0_14default_configElEElPlS6_NS0_8identityIlEEEEvT1_mT2_T3_,comdat
.Lfunc_end10:
	.size	_ZN7rocprim17ROCPRIM_304000_NS6detail16transform_kernelINS1_24wrapped_transform_configINS0_14default_configElEElPlS6_NS0_8identityIlEEEEvT1_mT2_T3_, .Lfunc_end10-_ZN7rocprim17ROCPRIM_304000_NS6detail16transform_kernelINS1_24wrapped_transform_configINS0_14default_configElEElPlS6_NS0_8identityIlEEEEvT1_mT2_T3_
                                        ; -- End function
	.set _ZN7rocprim17ROCPRIM_304000_NS6detail16transform_kernelINS1_24wrapped_transform_configINS0_14default_configElEElPlS6_NS0_8identityIlEEEEvT1_mT2_T3_.num_vgpr, 3
	.set _ZN7rocprim17ROCPRIM_304000_NS6detail16transform_kernelINS1_24wrapped_transform_configINS0_14default_configElEElPlS6_NS0_8identityIlEEEEvT1_mT2_T3_.num_agpr, 0
	.set _ZN7rocprim17ROCPRIM_304000_NS6detail16transform_kernelINS1_24wrapped_transform_configINS0_14default_configElEElPlS6_NS0_8identityIlEEEEvT1_mT2_T3_.numbered_sgpr, 10
	.set _ZN7rocprim17ROCPRIM_304000_NS6detail16transform_kernelINS1_24wrapped_transform_configINS0_14default_configElEElPlS6_NS0_8identityIlEEEEvT1_mT2_T3_.num_named_barrier, 0
	.set _ZN7rocprim17ROCPRIM_304000_NS6detail16transform_kernelINS1_24wrapped_transform_configINS0_14default_configElEElPlS6_NS0_8identityIlEEEEvT1_mT2_T3_.private_seg_size, 0
	.set _ZN7rocprim17ROCPRIM_304000_NS6detail16transform_kernelINS1_24wrapped_transform_configINS0_14default_configElEElPlS6_NS0_8identityIlEEEEvT1_mT2_T3_.uses_vcc, 1
	.set _ZN7rocprim17ROCPRIM_304000_NS6detail16transform_kernelINS1_24wrapped_transform_configINS0_14default_configElEElPlS6_NS0_8identityIlEEEEvT1_mT2_T3_.uses_flat_scratch, 0
	.set _ZN7rocprim17ROCPRIM_304000_NS6detail16transform_kernelINS1_24wrapped_transform_configINS0_14default_configElEElPlS6_NS0_8identityIlEEEEvT1_mT2_T3_.has_dyn_sized_stack, 0
	.set _ZN7rocprim17ROCPRIM_304000_NS6detail16transform_kernelINS1_24wrapped_transform_configINS0_14default_configElEElPlS6_NS0_8identityIlEEEEvT1_mT2_T3_.has_recursion, 0
	.set _ZN7rocprim17ROCPRIM_304000_NS6detail16transform_kernelINS1_24wrapped_transform_configINS0_14default_configElEElPlS6_NS0_8identityIlEEEEvT1_mT2_T3_.has_indirect_call, 0
	.section	.AMDGPU.csdata,"",@progbits
; Kernel info:
; codeLenInByte = 120
; TotalNumSgprs: 14
; NumVgprs: 3
; ScratchSize: 0
; MemoryBound: 0
; FloatMode: 240
; IeeeMode: 1
; LDSByteSize: 0 bytes/workgroup (compile time only)
; SGPRBlocks: 1
; VGPRBlocks: 0
; NumSGPRsForWavesPerEU: 14
; NumVGPRsForWavesPerEU: 3
; Occupancy: 10
; WaveLimiterHint : 0
; COMPUTE_PGM_RSRC2:SCRATCH_EN: 0
; COMPUTE_PGM_RSRC2:USER_SGPR: 6
; COMPUTE_PGM_RSRC2:TRAP_HANDLER: 0
; COMPUTE_PGM_RSRC2:TGID_X_EN: 1
; COMPUTE_PGM_RSRC2:TGID_Y_EN: 0
; COMPUTE_PGM_RSRC2:TGID_Z_EN: 0
; COMPUTE_PGM_RSRC2:TIDIG_COMP_CNT: 0
	.section	.text._ZN7rocprim17ROCPRIM_304000_NS6detail18single_scan_kernelILb0ENS1_19wrapped_scan_configINS0_14default_configElEEPKlPlSt4plusIvEllEEvT1_mT4_T2_T3_,"axG",@progbits,_ZN7rocprim17ROCPRIM_304000_NS6detail18single_scan_kernelILb0ENS1_19wrapped_scan_configINS0_14default_configElEEPKlPlSt4plusIvEllEEvT1_mT4_T2_T3_,comdat
	.protected	_ZN7rocprim17ROCPRIM_304000_NS6detail18single_scan_kernelILb0ENS1_19wrapped_scan_configINS0_14default_configElEEPKlPlSt4plusIvEllEEvT1_mT4_T2_T3_ ; -- Begin function _ZN7rocprim17ROCPRIM_304000_NS6detail18single_scan_kernelILb0ENS1_19wrapped_scan_configINS0_14default_configElEEPKlPlSt4plusIvEllEEvT1_mT4_T2_T3_
	.globl	_ZN7rocprim17ROCPRIM_304000_NS6detail18single_scan_kernelILb0ENS1_19wrapped_scan_configINS0_14default_configElEEPKlPlSt4plusIvEllEEvT1_mT4_T2_T3_
	.p2align	8
	.type	_ZN7rocprim17ROCPRIM_304000_NS6detail18single_scan_kernelILb0ENS1_19wrapped_scan_configINS0_14default_configElEEPKlPlSt4plusIvEllEEvT1_mT4_T2_T3_,@function
_ZN7rocprim17ROCPRIM_304000_NS6detail18single_scan_kernelILb0ENS1_19wrapped_scan_configINS0_14default_configElEEPKlPlSt4plusIvEllEEvT1_mT4_T2_T3_: ; @_ZN7rocprim17ROCPRIM_304000_NS6detail18single_scan_kernelILb0ENS1_19wrapped_scan_configINS0_14default_configElEEPKlPlSt4plusIvEllEEvT1_mT4_T2_T3_
; %bb.0:
	s_load_dwordx4 s[24:27], s[4:5], 0x0
	v_lshlrev_b32_e32 v33, 3, v0
	s_waitcnt lgkmcnt(0)
	s_load_dwordx2 s[30:31], s[24:25], 0x0
	v_mov_b32_e32 v1, s25
	v_add_co_u32_e32 v3, vcc, s24, v33
	v_addc_co_u32_e32 v4, vcc, 0, v1, vcc
	s_waitcnt lgkmcnt(0)
	v_mov_b32_e32 v1, s30
	v_cmp_gt_u32_e64 s[0:1], s26, v0
	v_mov_b32_e32 v2, s31
	s_and_saveexec_b64 s[2:3], s[0:1]
	s_cbranch_execz .LBB11_2
; %bb.1:
	global_load_dwordx2 v[1:2], v[3:4], off
.LBB11_2:
	s_or_b64 exec, exec, s[2:3]
	v_or_b32_e32 v5, 64, v0
	v_cmp_gt_u32_e64 s[2:3], s26, v5
	v_mov_b32_e32 v5, s30
	v_mov_b32_e32 v6, s31
	s_and_saveexec_b64 s[6:7], s[2:3]
	s_cbranch_execz .LBB11_4
; %bb.3:
	global_load_dwordx2 v[5:6], v[3:4], off offset:512
.LBB11_4:
	s_or_b64 exec, exec, s[6:7]
	v_or_b32_e32 v7, 0x80, v0
	v_cmp_gt_u32_e64 s[28:29], s26, v7
	v_mov_b32_e32 v7, s30
	v_mov_b32_e32 v8, s31
	s_and_saveexec_b64 s[6:7], s[28:29]
	s_cbranch_execz .LBB11_6
; %bb.5:
	global_load_dwordx2 v[7:8], v[3:4], off offset:1024
.LBB11_6:
	;; [unrolled: 10-line block ×7, first 2 shown]
	s_or_b64 exec, exec, s[16:17]
	v_or_b32_e32 v19, 0x200, v0
	v_cmp_gt_u32_e64 s[16:17], s26, v19
	v_mov_b32_e32 v19, s30
	v_mov_b32_e32 v20, s31
	s_and_saveexec_b64 s[18:19], s[16:17]
	s_cbranch_execz .LBB11_18
; %bb.17:
	v_add_co_u32_e32 v19, vcc, 0x1000, v3
	v_addc_co_u32_e32 v20, vcc, 0, v4, vcc
	global_load_dwordx2 v[19:20], v[19:20], off
.LBB11_18:
	s_or_b64 exec, exec, s[18:19]
	v_or_b32_e32 v21, 0x240, v0
	v_cmp_gt_u32_e64 s[18:19], s26, v21
	v_mov_b32_e32 v21, s30
	v_mov_b32_e32 v22, s31
	s_and_saveexec_b64 s[20:21], s[18:19]
	s_cbranch_execz .LBB11_20
; %bb.19:
	v_add_co_u32_e32 v21, vcc, 0x1000, v3
	v_addc_co_u32_e32 v22, vcc, 0, v4, vcc
	global_load_dwordx2 v[21:22], v[21:22], off offset:512
.LBB11_20:
	s_or_b64 exec, exec, s[20:21]
	v_or_b32_e32 v23, 0x280, v0
	v_cmp_gt_u32_e64 s[20:21], s26, v23
	v_mov_b32_e32 v23, s30
	v_mov_b32_e32 v24, s31
	s_and_saveexec_b64 s[22:23], s[20:21]
	s_cbranch_execz .LBB11_22
; %bb.21:
	v_add_co_u32_e32 v23, vcc, 0x1000, v3
	v_addc_co_u32_e32 v24, vcc, 0, v4, vcc
	global_load_dwordx2 v[23:24], v[23:24], off offset:1024
.LBB11_22:
	;; [unrolled: 12-line block ×5, first 2 shown]
	s_or_b64 exec, exec, s[30:31]
	s_movk_i32 s30, 0x68
	s_waitcnt vmcnt(0)
	ds_write2st64_b64 v33, v[1:2], v[5:6] offset1:1
	ds_write2st64_b64 v33, v[7:8], v[9:10] offset0:2 offset1:3
	ds_write2st64_b64 v33, v[11:12], v[13:14] offset0:4 offset1:5
	;; [unrolled: 1-line block ×6, first 2 shown]
	v_mad_u32_u24 v25, v0, s30, v33
	s_waitcnt lgkmcnt(0)
	; wave barrier
	ds_read_b128 v[13:16], v25
	ds_read_b128 v[9:12], v25 offset:16
	ds_read_b128 v[5:8], v25 offset:32
	;; [unrolled: 1-line block ×6, first 2 shown]
	s_waitcnt lgkmcnt(6)
	v_add_co_u32_e32 v29, vcc, v15, v13
	v_addc_co_u32_e32 v30, vcc, v16, v14, vcc
	s_waitcnt lgkmcnt(5)
	v_add_co_u32_e32 v29, vcc, v29, v9
	v_addc_co_u32_e32 v30, vcc, v30, v10, vcc
	v_add_co_u32_e32 v29, vcc, v29, v11
	v_addc_co_u32_e32 v30, vcc, v30, v12, vcc
	s_waitcnt lgkmcnt(4)
	v_add_co_u32_e32 v29, vcc, v29, v5
	v_addc_co_u32_e32 v30, vcc, v30, v6, vcc
	;; [unrolled: 5-line block ×6, first 2 shown]
	v_add_co_u32_e32 v29, vcc, v29, v27
	v_mbcnt_lo_u32_b32 v31, -1, 0
	v_addc_co_u32_e32 v30, vcc, v30, v28, vcc
	v_mbcnt_hi_u32_b32 v34, -1, v31
	v_and_b32_e32 v35, 15, v34
	v_mov_b32_e32 v32, v30
	v_mov_b32_dpp v37, v29 row_shr:1 row_mask:0xf bank_mask:0xf
	v_mov_b32_dpp v36, v30 row_shr:1 row_mask:0xf bank_mask:0xf
	v_cmp_ne_u32_e32 vcc, 0, v35
	v_mov_b32_e32 v31, v29
	; wave barrier
	s_and_saveexec_b64 s[30:31], vcc
; %bb.29:
	v_add_co_u32_e32 v29, vcc, v29, v37
	v_addc_co_u32_e32 v30, vcc, 0, v30, vcc
	v_add_co_u32_e32 v31, vcc, 0, v29
	v_addc_co_u32_e32 v32, vcc, v36, v30, vcc
	v_mov_b32_e32 v30, v32
; %bb.30:
	s_or_b64 exec, exec, s[30:31]
	v_mov_b32_dpp v37, v29 row_shr:2 row_mask:0xf bank_mask:0xf
	v_mov_b32_dpp v36, v30 row_shr:2 row_mask:0xf bank_mask:0xf
	v_cmp_lt_u32_e32 vcc, 1, v35
	s_and_saveexec_b64 s[30:31], vcc
; %bb.31:
	v_add_co_u32_e32 v29, vcc, v31, v37
	v_addc_co_u32_e32 v30, vcc, 0, v32, vcc
	v_add_co_u32_e32 v31, vcc, 0, v29
	v_addc_co_u32_e32 v32, vcc, v36, v30, vcc
	v_mov_b32_e32 v30, v32
; %bb.32:
	s_or_b64 exec, exec, s[30:31]
	v_mov_b32_dpp v37, v29 row_shr:4 row_mask:0xf bank_mask:0xf
	v_mov_b32_dpp v36, v30 row_shr:4 row_mask:0xf bank_mask:0xf
	v_cmp_lt_u32_e32 vcc, 3, v35
	;; [unrolled: 12-line block ×3, first 2 shown]
	s_and_saveexec_b64 s[30:31], vcc
; %bb.35:
	v_add_co_u32_e32 v29, vcc, v31, v37
	v_addc_co_u32_e32 v30, vcc, 0, v32, vcc
	v_add_co_u32_e32 v31, vcc, 0, v29
	v_addc_co_u32_e32 v32, vcc, v36, v30, vcc
	v_mov_b32_e32 v30, v32
; %bb.36:
	s_or_b64 exec, exec, s[30:31]
	v_and_b32_e32 v37, 16, v34
	v_mov_b32_dpp v36, v29 row_bcast:15 row_mask:0xf bank_mask:0xf
	v_mov_b32_dpp v35, v30 row_bcast:15 row_mask:0xf bank_mask:0xf
	v_cmp_ne_u32_e32 vcc, 0, v37
	s_and_saveexec_b64 s[30:31], vcc
; %bb.37:
	v_add_co_u32_e32 v29, vcc, v31, v36
	v_addc_co_u32_e32 v30, vcc, 0, v32, vcc
	v_add_co_u32_e32 v31, vcc, 0, v29
	v_addc_co_u32_e32 v32, vcc, v35, v30, vcc
	v_mov_b32_e32 v30, v32
; %bb.38:
	s_or_b64 exec, exec, s[30:31]
	v_mov_b32_dpp v36, v29 row_bcast:31 row_mask:0xf bank_mask:0xf
	v_mov_b32_dpp v35, v30 row_bcast:31 row_mask:0xf bank_mask:0xf
	v_cmp_lt_u32_e32 vcc, 31, v34
	s_and_saveexec_b64 s[30:31], vcc
; %bb.39:
	v_add_co_u32_e32 v29, vcc, v31, v36
	v_addc_co_u32_e32 v30, vcc, 0, v32, vcc
	v_add_co_u32_e32 v31, vcc, 0, v29
	v_addc_co_u32_e32 v32, vcc, v35, v30, vcc
	v_mov_b32_e32 v30, v32
; %bb.40:
	s_or_b64 exec, exec, s[30:31]
	v_mul_u32_u24_e32 v35, 0x68, v0
	v_cmp_eq_u32_e32 vcc, 63, v0
	s_and_saveexec_b64 s[30:31], vcc
; %bb.41:
	v_mov_b32_e32 v36, 0
	ds_write_b64 v36, v[31:32]
; %bb.42:
	s_or_b64 exec, exec, s[30:31]
	v_add_u32_e32 v31, -1, v34
	v_and_b32_e32 v32, 64, v34
	v_cmp_lt_i32_e32 vcc, v31, v32
	v_cndmask_b32_e32 v31, v31, v34, vcc
	v_lshlrev_b32_e32 v31, 2, v31
	ds_bpermute_b32 v29, v31, v29
	ds_bpermute_b32 v30, v31, v30
	v_cmp_ne_u32_e32 vcc, 0, v0
	s_waitcnt lgkmcnt(0)
	; wave barrier
	v_cndmask_b32_e32 v29, 0, v29, vcc
	v_cndmask_b32_e32 v30, 0, v30, vcc
	v_add_co_u32_e32 v13, vcc, v29, v13
	v_addc_co_u32_e32 v14, vcc, v30, v14, vcc
	v_add_co_u32_e32 v15, vcc, v13, v15
	v_addc_co_u32_e32 v16, vcc, v14, v16, vcc
	;; [unrolled: 2-line block ×13, first 2 shown]
	v_add_co_u32_e32 v27, vcc, v25, v27
	v_add_u32_e32 v29, v33, v35
	v_addc_co_u32_e32 v28, vcc, v26, v28, vcc
	; wave barrier
	ds_write_b128 v29, v[13:16]
	ds_write_b128 v29, v[9:12] offset:16
	ds_write_b128 v29, v[5:8] offset:32
	;; [unrolled: 1-line block ×6, first 2 shown]
	s_waitcnt lgkmcnt(0)
	; wave barrier
	ds_read2st64_b64 v[21:24], v33 offset0:1 offset1:2
	ds_read2st64_b64 v[17:20], v33 offset0:3 offset1:4
	;; [unrolled: 1-line block ×6, first 2 shown]
	ds_read_b64 v[25:26], v33 offset:6656
	s_load_dwordx2 s[4:5], s[4:5], 0x18
	v_lshlrev_b32_e32 v0, 3, v0
	s_waitcnt lgkmcnt(0)
	v_mov_b32_e32 v28, s5
	v_add_co_u32_e32 v27, vcc, s4, v0
	v_addc_co_u32_e32 v28, vcc, 0, v28, vcc
	s_and_saveexec_b64 s[4:5], s[0:1]
	s_cbranch_execnz .LBB11_57
; %bb.43:
	s_or_b64 exec, exec, s[4:5]
	s_and_saveexec_b64 s[0:1], s[2:3]
	s_cbranch_execnz .LBB11_58
.LBB11_44:
	s_or_b64 exec, exec, s[0:1]
	s_and_saveexec_b64 s[0:1], s[28:29]
	s_cbranch_execnz .LBB11_59
.LBB11_45:
	s_or_b64 exec, exec, s[0:1]
	s_and_saveexec_b64 s[0:1], s[6:7]
	s_cbranch_execnz .LBB11_60
.LBB11_46:
	s_or_b64 exec, exec, s[0:1]
	s_and_saveexec_b64 s[0:1], s[8:9]
	s_cbranch_execnz .LBB11_61
.LBB11_47:
	s_or_b64 exec, exec, s[0:1]
	s_and_saveexec_b64 s[0:1], s[10:11]
	s_cbranch_execnz .LBB11_62
.LBB11_48:
	s_or_b64 exec, exec, s[0:1]
	s_and_saveexec_b64 s[0:1], s[12:13]
	s_cbranch_execnz .LBB11_63
.LBB11_49:
	s_or_b64 exec, exec, s[0:1]
	s_and_saveexec_b64 s[0:1], s[14:15]
	s_cbranch_execnz .LBB11_64
.LBB11_50:
	s_or_b64 exec, exec, s[0:1]
	s_and_saveexec_b64 s[0:1], s[16:17]
	s_cbranch_execnz .LBB11_65
.LBB11_51:
	s_or_b64 exec, exec, s[0:1]
	s_and_saveexec_b64 s[0:1], s[18:19]
	s_cbranch_execnz .LBB11_66
.LBB11_52:
	s_or_b64 exec, exec, s[0:1]
	s_and_saveexec_b64 s[0:1], s[20:21]
	s_cbranch_execnz .LBB11_67
.LBB11_53:
	s_or_b64 exec, exec, s[0:1]
	s_and_saveexec_b64 s[0:1], s[22:23]
	s_cbranch_execnz .LBB11_68
.LBB11_54:
	s_or_b64 exec, exec, s[0:1]
	s_and_saveexec_b64 s[0:1], s[24:25]
	s_cbranch_execnz .LBB11_69
.LBB11_55:
	s_or_b64 exec, exec, s[0:1]
	s_and_saveexec_b64 s[0:1], s[26:27]
	s_cbranch_execnz .LBB11_70
.LBB11_56:
	s_endpgm
.LBB11_57:
	ds_read_b64 v[29:30], v33
	s_waitcnt lgkmcnt(0)
	global_store_dwordx2 v[27:28], v[29:30], off
	s_or_b64 exec, exec, s[4:5]
	s_and_saveexec_b64 s[0:1], s[2:3]
	s_cbranch_execz .LBB11_44
.LBB11_58:
	global_store_dwordx2 v[27:28], v[21:22], off offset:512
	s_or_b64 exec, exec, s[0:1]
	s_and_saveexec_b64 s[0:1], s[28:29]
	s_cbranch_execz .LBB11_45
.LBB11_59:
	global_store_dwordx2 v[27:28], v[23:24], off offset:1024
	s_or_b64 exec, exec, s[0:1]
	s_and_saveexec_b64 s[0:1], s[6:7]
	s_cbranch_execz .LBB11_46
.LBB11_60:
	global_store_dwordx2 v[27:28], v[17:18], off offset:1536
	s_or_b64 exec, exec, s[0:1]
	s_and_saveexec_b64 s[0:1], s[8:9]
	s_cbranch_execz .LBB11_47
.LBB11_61:
	global_store_dwordx2 v[27:28], v[19:20], off offset:2048
	s_or_b64 exec, exec, s[0:1]
	s_and_saveexec_b64 s[0:1], s[10:11]
	s_cbranch_execz .LBB11_48
.LBB11_62:
	global_store_dwordx2 v[27:28], v[13:14], off offset:2560
	s_or_b64 exec, exec, s[0:1]
	s_and_saveexec_b64 s[0:1], s[12:13]
	s_cbranch_execz .LBB11_49
.LBB11_63:
	global_store_dwordx2 v[27:28], v[15:16], off offset:3072
	s_or_b64 exec, exec, s[0:1]
	s_and_saveexec_b64 s[0:1], s[14:15]
	s_cbranch_execz .LBB11_50
.LBB11_64:
	global_store_dwordx2 v[27:28], v[9:10], off offset:3584
	s_or_b64 exec, exec, s[0:1]
	s_and_saveexec_b64 s[0:1], s[16:17]
	s_cbranch_execz .LBB11_51
.LBB11_65:
	v_add_co_u32_e32 v9, vcc, 0x1000, v27
	v_addc_co_u32_e32 v10, vcc, 0, v28, vcc
	global_store_dwordx2 v[9:10], v[11:12], off
	s_or_b64 exec, exec, s[0:1]
	s_and_saveexec_b64 s[0:1], s[18:19]
	s_cbranch_execz .LBB11_52
.LBB11_66:
	v_add_co_u32_e32 v9, vcc, 0x1000, v27
	v_addc_co_u32_e32 v10, vcc, 0, v28, vcc
	global_store_dwordx2 v[9:10], v[5:6], off offset:512
	s_or_b64 exec, exec, s[0:1]
	s_and_saveexec_b64 s[0:1], s[20:21]
	s_cbranch_execz .LBB11_53
.LBB11_67:
	v_add_co_u32_e32 v5, vcc, 0x1000, v27
	v_addc_co_u32_e32 v6, vcc, 0, v28, vcc
	global_store_dwordx2 v[5:6], v[7:8], off offset:1024
	s_or_b64 exec, exec, s[0:1]
	s_and_saveexec_b64 s[0:1], s[22:23]
	s_cbranch_execz .LBB11_54
.LBB11_68:
	v_add_co_u32_e32 v5, vcc, 0x1000, v27
	v_addc_co_u32_e32 v6, vcc, 0, v28, vcc
	global_store_dwordx2 v[5:6], v[1:2], off offset:1536
	s_or_b64 exec, exec, s[0:1]
	s_and_saveexec_b64 s[0:1], s[24:25]
	s_cbranch_execz .LBB11_55
.LBB11_69:
	v_add_co_u32_e32 v0, vcc, 0x1000, v27
	v_addc_co_u32_e32 v1, vcc, 0, v28, vcc
	global_store_dwordx2 v[0:1], v[3:4], off offset:2048
	s_or_b64 exec, exec, s[0:1]
	s_and_saveexec_b64 s[0:1], s[26:27]
	s_cbranch_execz .LBB11_56
.LBB11_70:
	v_add_co_u32_e32 v0, vcc, 0x1000, v27
	v_addc_co_u32_e32 v1, vcc, 0, v28, vcc
	global_store_dwordx2 v[0:1], v[25:26], off offset:2560
	s_endpgm
	.section	.rodata,"a",@progbits
	.p2align	6, 0x0
	.amdhsa_kernel _ZN7rocprim17ROCPRIM_304000_NS6detail18single_scan_kernelILb0ENS1_19wrapped_scan_configINS0_14default_configElEEPKlPlSt4plusIvEllEEvT1_mT4_T2_T3_
		.amdhsa_group_segment_fixed_size 7168
		.amdhsa_private_segment_fixed_size 0
		.amdhsa_kernarg_size 36
		.amdhsa_user_sgpr_count 6
		.amdhsa_user_sgpr_private_segment_buffer 1
		.amdhsa_user_sgpr_dispatch_ptr 0
		.amdhsa_user_sgpr_queue_ptr 0
		.amdhsa_user_sgpr_kernarg_segment_ptr 1
		.amdhsa_user_sgpr_dispatch_id 0
		.amdhsa_user_sgpr_flat_scratch_init 0
		.amdhsa_user_sgpr_private_segment_size 0
		.amdhsa_uses_dynamic_stack 0
		.amdhsa_system_sgpr_private_segment_wavefront_offset 0
		.amdhsa_system_sgpr_workgroup_id_x 1
		.amdhsa_system_sgpr_workgroup_id_y 0
		.amdhsa_system_sgpr_workgroup_id_z 0
		.amdhsa_system_sgpr_workgroup_info 0
		.amdhsa_system_vgpr_workitem_id 0
		.amdhsa_next_free_vgpr 65
		.amdhsa_next_free_sgpr 98
		.amdhsa_reserve_vcc 1
		.amdhsa_reserve_flat_scratch 0
		.amdhsa_float_round_mode_32 0
		.amdhsa_float_round_mode_16_64 0
		.amdhsa_float_denorm_mode_32 3
		.amdhsa_float_denorm_mode_16_64 3
		.amdhsa_dx10_clamp 1
		.amdhsa_ieee_mode 1
		.amdhsa_fp16_overflow 0
		.amdhsa_exception_fp_ieee_invalid_op 0
		.amdhsa_exception_fp_denorm_src 0
		.amdhsa_exception_fp_ieee_div_zero 0
		.amdhsa_exception_fp_ieee_overflow 0
		.amdhsa_exception_fp_ieee_underflow 0
		.amdhsa_exception_fp_ieee_inexact 0
		.amdhsa_exception_int_div_zero 0
	.end_amdhsa_kernel
	.section	.text._ZN7rocprim17ROCPRIM_304000_NS6detail18single_scan_kernelILb0ENS1_19wrapped_scan_configINS0_14default_configElEEPKlPlSt4plusIvEllEEvT1_mT4_T2_T3_,"axG",@progbits,_ZN7rocprim17ROCPRIM_304000_NS6detail18single_scan_kernelILb0ENS1_19wrapped_scan_configINS0_14default_configElEEPKlPlSt4plusIvEllEEvT1_mT4_T2_T3_,comdat
.Lfunc_end11:
	.size	_ZN7rocprim17ROCPRIM_304000_NS6detail18single_scan_kernelILb0ENS1_19wrapped_scan_configINS0_14default_configElEEPKlPlSt4plusIvEllEEvT1_mT4_T2_T3_, .Lfunc_end11-_ZN7rocprim17ROCPRIM_304000_NS6detail18single_scan_kernelILb0ENS1_19wrapped_scan_configINS0_14default_configElEEPKlPlSt4plusIvEllEEvT1_mT4_T2_T3_
                                        ; -- End function
	.set _ZN7rocprim17ROCPRIM_304000_NS6detail18single_scan_kernelILb0ENS1_19wrapped_scan_configINS0_14default_configElEEPKlPlSt4plusIvEllEEvT1_mT4_T2_T3_.num_vgpr, 38
	.set _ZN7rocprim17ROCPRIM_304000_NS6detail18single_scan_kernelILb0ENS1_19wrapped_scan_configINS0_14default_configElEEPKlPlSt4plusIvEllEEvT1_mT4_T2_T3_.num_agpr, 0
	.set _ZN7rocprim17ROCPRIM_304000_NS6detail18single_scan_kernelILb0ENS1_19wrapped_scan_configINS0_14default_configElEEPKlPlSt4plusIvEllEEvT1_mT4_T2_T3_.numbered_sgpr, 36
	.set _ZN7rocprim17ROCPRIM_304000_NS6detail18single_scan_kernelILb0ENS1_19wrapped_scan_configINS0_14default_configElEEPKlPlSt4plusIvEllEEvT1_mT4_T2_T3_.num_named_barrier, 0
	.set _ZN7rocprim17ROCPRIM_304000_NS6detail18single_scan_kernelILb0ENS1_19wrapped_scan_configINS0_14default_configElEEPKlPlSt4plusIvEllEEvT1_mT4_T2_T3_.private_seg_size, 0
	.set _ZN7rocprim17ROCPRIM_304000_NS6detail18single_scan_kernelILb0ENS1_19wrapped_scan_configINS0_14default_configElEEPKlPlSt4plusIvEllEEvT1_mT4_T2_T3_.uses_vcc, 1
	.set _ZN7rocprim17ROCPRIM_304000_NS6detail18single_scan_kernelILb0ENS1_19wrapped_scan_configINS0_14default_configElEEPKlPlSt4plusIvEllEEvT1_mT4_T2_T3_.uses_flat_scratch, 0
	.set _ZN7rocprim17ROCPRIM_304000_NS6detail18single_scan_kernelILb0ENS1_19wrapped_scan_configINS0_14default_configElEEPKlPlSt4plusIvEllEEvT1_mT4_T2_T3_.has_dyn_sized_stack, 0
	.set _ZN7rocprim17ROCPRIM_304000_NS6detail18single_scan_kernelILb0ENS1_19wrapped_scan_configINS0_14default_configElEEPKlPlSt4plusIvEllEEvT1_mT4_T2_T3_.has_recursion, 0
	.set _ZN7rocprim17ROCPRIM_304000_NS6detail18single_scan_kernelILb0ENS1_19wrapped_scan_configINS0_14default_configElEEPKlPlSt4plusIvEllEEvT1_mT4_T2_T3_.has_indirect_call, 0
	.section	.AMDGPU.csdata,"",@progbits
; Kernel info:
; codeLenInByte = 2168
; TotalNumSgprs: 40
; NumVgprs: 38
; ScratchSize: 0
; MemoryBound: 0
; FloatMode: 240
; IeeeMode: 1
; LDSByteSize: 7168 bytes/workgroup (compile time only)
; SGPRBlocks: 12
; VGPRBlocks: 16
; NumSGPRsForWavesPerEU: 102
; NumVGPRsForWavesPerEU: 65
; Occupancy: 3
; WaveLimiterHint : 0
; COMPUTE_PGM_RSRC2:SCRATCH_EN: 0
; COMPUTE_PGM_RSRC2:USER_SGPR: 6
; COMPUTE_PGM_RSRC2:TRAP_HANDLER: 0
; COMPUTE_PGM_RSRC2:TGID_X_EN: 1
; COMPUTE_PGM_RSRC2:TGID_Y_EN: 0
; COMPUTE_PGM_RSRC2:TGID_Z_EN: 0
; COMPUTE_PGM_RSRC2:TIDIG_COMP_CNT: 0
	.section	.text._ZN7rocprim17ROCPRIM_304000_NS6detail20lookback_scan_kernelILNS1_25lookback_scan_determinismE0ELb0ENS1_19wrapped_scan_configINS0_14default_configEiEEPKiPlSt4plusIvEiiNS1_19lookback_scan_stateIiLb1ELb1EEEEEvT2_T3_mT5_T4_T7_jPT6_SK_bb,"axG",@progbits,_ZN7rocprim17ROCPRIM_304000_NS6detail20lookback_scan_kernelILNS1_25lookback_scan_determinismE0ELb0ENS1_19wrapped_scan_configINS0_14default_configEiEEPKiPlSt4plusIvEiiNS1_19lookback_scan_stateIiLb1ELb1EEEEEvT2_T3_mT5_T4_T7_jPT6_SK_bb,comdat
	.protected	_ZN7rocprim17ROCPRIM_304000_NS6detail20lookback_scan_kernelILNS1_25lookback_scan_determinismE0ELb0ENS1_19wrapped_scan_configINS0_14default_configEiEEPKiPlSt4plusIvEiiNS1_19lookback_scan_stateIiLb1ELb1EEEEEvT2_T3_mT5_T4_T7_jPT6_SK_bb ; -- Begin function _ZN7rocprim17ROCPRIM_304000_NS6detail20lookback_scan_kernelILNS1_25lookback_scan_determinismE0ELb0ENS1_19wrapped_scan_configINS0_14default_configEiEEPKiPlSt4plusIvEiiNS1_19lookback_scan_stateIiLb1ELb1EEEEEvT2_T3_mT5_T4_T7_jPT6_SK_bb
	.globl	_ZN7rocprim17ROCPRIM_304000_NS6detail20lookback_scan_kernelILNS1_25lookback_scan_determinismE0ELb0ENS1_19wrapped_scan_configINS0_14default_configEiEEPKiPlSt4plusIvEiiNS1_19lookback_scan_stateIiLb1ELb1EEEEEvT2_T3_mT5_T4_T7_jPT6_SK_bb
	.p2align	8
	.type	_ZN7rocprim17ROCPRIM_304000_NS6detail20lookback_scan_kernelILNS1_25lookback_scan_determinismE0ELb0ENS1_19wrapped_scan_configINS0_14default_configEiEEPKiPlSt4plusIvEiiNS1_19lookback_scan_stateIiLb1ELb1EEEEEvT2_T3_mT5_T4_T7_jPT6_SK_bb,@function
_ZN7rocprim17ROCPRIM_304000_NS6detail20lookback_scan_kernelILNS1_25lookback_scan_determinismE0ELb0ENS1_19wrapped_scan_configINS0_14default_configEiEEPKiPlSt4plusIvEiiNS1_19lookback_scan_stateIiLb1ELb1EEEEEvT2_T3_mT5_T4_T7_jPT6_SK_bb: ; @_ZN7rocprim17ROCPRIM_304000_NS6detail20lookback_scan_kernelILNS1_25lookback_scan_determinismE0ELb0ENS1_19wrapped_scan_configINS0_14default_configEiEEPKiPlSt4plusIvEiiNS1_19lookback_scan_stateIiLb1ELb1EEEEEvT2_T3_mT5_T4_T7_jPT6_SK_bb
; %bb.0:
	s_endpgm
	.section	.rodata,"a",@progbits
	.p2align	6, 0x0
	.amdhsa_kernel _ZN7rocprim17ROCPRIM_304000_NS6detail20lookback_scan_kernelILNS1_25lookback_scan_determinismE0ELb0ENS1_19wrapped_scan_configINS0_14default_configEiEEPKiPlSt4plusIvEiiNS1_19lookback_scan_stateIiLb1ELb1EEEEEvT2_T3_mT5_T4_T7_jPT6_SK_bb
		.amdhsa_group_segment_fixed_size 0
		.amdhsa_private_segment_fixed_size 0
		.amdhsa_kernarg_size 68
		.amdhsa_user_sgpr_count 6
		.amdhsa_user_sgpr_private_segment_buffer 1
		.amdhsa_user_sgpr_dispatch_ptr 0
		.amdhsa_user_sgpr_queue_ptr 0
		.amdhsa_user_sgpr_kernarg_segment_ptr 1
		.amdhsa_user_sgpr_dispatch_id 0
		.amdhsa_user_sgpr_flat_scratch_init 0
		.amdhsa_user_sgpr_private_segment_size 0
		.amdhsa_uses_dynamic_stack 0
		.amdhsa_system_sgpr_private_segment_wavefront_offset 0
		.amdhsa_system_sgpr_workgroup_id_x 1
		.amdhsa_system_sgpr_workgroup_id_y 0
		.amdhsa_system_sgpr_workgroup_id_z 0
		.amdhsa_system_sgpr_workgroup_info 0
		.amdhsa_system_vgpr_workitem_id 0
		.amdhsa_next_free_vgpr 1
		.amdhsa_next_free_sgpr 0
		.amdhsa_reserve_vcc 0
		.amdhsa_reserve_flat_scratch 0
		.amdhsa_float_round_mode_32 0
		.amdhsa_float_round_mode_16_64 0
		.amdhsa_float_denorm_mode_32 3
		.amdhsa_float_denorm_mode_16_64 3
		.amdhsa_dx10_clamp 1
		.amdhsa_ieee_mode 1
		.amdhsa_fp16_overflow 0
		.amdhsa_exception_fp_ieee_invalid_op 0
		.amdhsa_exception_fp_denorm_src 0
		.amdhsa_exception_fp_ieee_div_zero 0
		.amdhsa_exception_fp_ieee_overflow 0
		.amdhsa_exception_fp_ieee_underflow 0
		.amdhsa_exception_fp_ieee_inexact 0
		.amdhsa_exception_int_div_zero 0
	.end_amdhsa_kernel
	.section	.text._ZN7rocprim17ROCPRIM_304000_NS6detail20lookback_scan_kernelILNS1_25lookback_scan_determinismE0ELb0ENS1_19wrapped_scan_configINS0_14default_configEiEEPKiPlSt4plusIvEiiNS1_19lookback_scan_stateIiLb1ELb1EEEEEvT2_T3_mT5_T4_T7_jPT6_SK_bb,"axG",@progbits,_ZN7rocprim17ROCPRIM_304000_NS6detail20lookback_scan_kernelILNS1_25lookback_scan_determinismE0ELb0ENS1_19wrapped_scan_configINS0_14default_configEiEEPKiPlSt4plusIvEiiNS1_19lookback_scan_stateIiLb1ELb1EEEEEvT2_T3_mT5_T4_T7_jPT6_SK_bb,comdat
.Lfunc_end12:
	.size	_ZN7rocprim17ROCPRIM_304000_NS6detail20lookback_scan_kernelILNS1_25lookback_scan_determinismE0ELb0ENS1_19wrapped_scan_configINS0_14default_configEiEEPKiPlSt4plusIvEiiNS1_19lookback_scan_stateIiLb1ELb1EEEEEvT2_T3_mT5_T4_T7_jPT6_SK_bb, .Lfunc_end12-_ZN7rocprim17ROCPRIM_304000_NS6detail20lookback_scan_kernelILNS1_25lookback_scan_determinismE0ELb0ENS1_19wrapped_scan_configINS0_14default_configEiEEPKiPlSt4plusIvEiiNS1_19lookback_scan_stateIiLb1ELb1EEEEEvT2_T3_mT5_T4_T7_jPT6_SK_bb
                                        ; -- End function
	.set _ZN7rocprim17ROCPRIM_304000_NS6detail20lookback_scan_kernelILNS1_25lookback_scan_determinismE0ELb0ENS1_19wrapped_scan_configINS0_14default_configEiEEPKiPlSt4plusIvEiiNS1_19lookback_scan_stateIiLb1ELb1EEEEEvT2_T3_mT5_T4_T7_jPT6_SK_bb.num_vgpr, 0
	.set _ZN7rocprim17ROCPRIM_304000_NS6detail20lookback_scan_kernelILNS1_25lookback_scan_determinismE0ELb0ENS1_19wrapped_scan_configINS0_14default_configEiEEPKiPlSt4plusIvEiiNS1_19lookback_scan_stateIiLb1ELb1EEEEEvT2_T3_mT5_T4_T7_jPT6_SK_bb.num_agpr, 0
	.set _ZN7rocprim17ROCPRIM_304000_NS6detail20lookback_scan_kernelILNS1_25lookback_scan_determinismE0ELb0ENS1_19wrapped_scan_configINS0_14default_configEiEEPKiPlSt4plusIvEiiNS1_19lookback_scan_stateIiLb1ELb1EEEEEvT2_T3_mT5_T4_T7_jPT6_SK_bb.numbered_sgpr, 0
	.set _ZN7rocprim17ROCPRIM_304000_NS6detail20lookback_scan_kernelILNS1_25lookback_scan_determinismE0ELb0ENS1_19wrapped_scan_configINS0_14default_configEiEEPKiPlSt4plusIvEiiNS1_19lookback_scan_stateIiLb1ELb1EEEEEvT2_T3_mT5_T4_T7_jPT6_SK_bb.num_named_barrier, 0
	.set _ZN7rocprim17ROCPRIM_304000_NS6detail20lookback_scan_kernelILNS1_25lookback_scan_determinismE0ELb0ENS1_19wrapped_scan_configINS0_14default_configEiEEPKiPlSt4plusIvEiiNS1_19lookback_scan_stateIiLb1ELb1EEEEEvT2_T3_mT5_T4_T7_jPT6_SK_bb.private_seg_size, 0
	.set _ZN7rocprim17ROCPRIM_304000_NS6detail20lookback_scan_kernelILNS1_25lookback_scan_determinismE0ELb0ENS1_19wrapped_scan_configINS0_14default_configEiEEPKiPlSt4plusIvEiiNS1_19lookback_scan_stateIiLb1ELb1EEEEEvT2_T3_mT5_T4_T7_jPT6_SK_bb.uses_vcc, 0
	.set _ZN7rocprim17ROCPRIM_304000_NS6detail20lookback_scan_kernelILNS1_25lookback_scan_determinismE0ELb0ENS1_19wrapped_scan_configINS0_14default_configEiEEPKiPlSt4plusIvEiiNS1_19lookback_scan_stateIiLb1ELb1EEEEEvT2_T3_mT5_T4_T7_jPT6_SK_bb.uses_flat_scratch, 0
	.set _ZN7rocprim17ROCPRIM_304000_NS6detail20lookback_scan_kernelILNS1_25lookback_scan_determinismE0ELb0ENS1_19wrapped_scan_configINS0_14default_configEiEEPKiPlSt4plusIvEiiNS1_19lookback_scan_stateIiLb1ELb1EEEEEvT2_T3_mT5_T4_T7_jPT6_SK_bb.has_dyn_sized_stack, 0
	.set _ZN7rocprim17ROCPRIM_304000_NS6detail20lookback_scan_kernelILNS1_25lookback_scan_determinismE0ELb0ENS1_19wrapped_scan_configINS0_14default_configEiEEPKiPlSt4plusIvEiiNS1_19lookback_scan_stateIiLb1ELb1EEEEEvT2_T3_mT5_T4_T7_jPT6_SK_bb.has_recursion, 0
	.set _ZN7rocprim17ROCPRIM_304000_NS6detail20lookback_scan_kernelILNS1_25lookback_scan_determinismE0ELb0ENS1_19wrapped_scan_configINS0_14default_configEiEEPKiPlSt4plusIvEiiNS1_19lookback_scan_stateIiLb1ELb1EEEEEvT2_T3_mT5_T4_T7_jPT6_SK_bb.has_indirect_call, 0
	.section	.AMDGPU.csdata,"",@progbits
; Kernel info:
; codeLenInByte = 4
; TotalNumSgprs: 4
; NumVgprs: 0
; ScratchSize: 0
; MemoryBound: 0
; FloatMode: 240
; IeeeMode: 1
; LDSByteSize: 0 bytes/workgroup (compile time only)
; SGPRBlocks: 0
; VGPRBlocks: 0
; NumSGPRsForWavesPerEU: 4
; NumVGPRsForWavesPerEU: 1
; Occupancy: 10
; WaveLimiterHint : 0
; COMPUTE_PGM_RSRC2:SCRATCH_EN: 0
; COMPUTE_PGM_RSRC2:USER_SGPR: 6
; COMPUTE_PGM_RSRC2:TRAP_HANDLER: 0
; COMPUTE_PGM_RSRC2:TGID_X_EN: 1
; COMPUTE_PGM_RSRC2:TGID_Y_EN: 0
; COMPUTE_PGM_RSRC2:TGID_Z_EN: 0
; COMPUTE_PGM_RSRC2:TIDIG_COMP_CNT: 0
	.section	.text._ZN7rocprim17ROCPRIM_304000_NS6detail20lookback_scan_kernelILNS1_25lookback_scan_determinismE0ELb0ENS1_19wrapped_scan_configINS0_14default_configEiEEPKiPlSt4plusIvEiiNS1_19lookback_scan_stateIiLb0ELb1EEEEEvT2_T3_mT5_T4_T7_jPT6_SK_bb,"axG",@progbits,_ZN7rocprim17ROCPRIM_304000_NS6detail20lookback_scan_kernelILNS1_25lookback_scan_determinismE0ELb0ENS1_19wrapped_scan_configINS0_14default_configEiEEPKiPlSt4plusIvEiiNS1_19lookback_scan_stateIiLb0ELb1EEEEEvT2_T3_mT5_T4_T7_jPT6_SK_bb,comdat
	.protected	_ZN7rocprim17ROCPRIM_304000_NS6detail20lookback_scan_kernelILNS1_25lookback_scan_determinismE0ELb0ENS1_19wrapped_scan_configINS0_14default_configEiEEPKiPlSt4plusIvEiiNS1_19lookback_scan_stateIiLb0ELb1EEEEEvT2_T3_mT5_T4_T7_jPT6_SK_bb ; -- Begin function _ZN7rocprim17ROCPRIM_304000_NS6detail20lookback_scan_kernelILNS1_25lookback_scan_determinismE0ELb0ENS1_19wrapped_scan_configINS0_14default_configEiEEPKiPlSt4plusIvEiiNS1_19lookback_scan_stateIiLb0ELb1EEEEEvT2_T3_mT5_T4_T7_jPT6_SK_bb
	.globl	_ZN7rocprim17ROCPRIM_304000_NS6detail20lookback_scan_kernelILNS1_25lookback_scan_determinismE0ELb0ENS1_19wrapped_scan_configINS0_14default_configEiEEPKiPlSt4plusIvEiiNS1_19lookback_scan_stateIiLb0ELb1EEEEEvT2_T3_mT5_T4_T7_jPT6_SK_bb
	.p2align	8
	.type	_ZN7rocprim17ROCPRIM_304000_NS6detail20lookback_scan_kernelILNS1_25lookback_scan_determinismE0ELb0ENS1_19wrapped_scan_configINS0_14default_configEiEEPKiPlSt4plusIvEiiNS1_19lookback_scan_stateIiLb0ELb1EEEEEvT2_T3_mT5_T4_T7_jPT6_SK_bb,@function
_ZN7rocprim17ROCPRIM_304000_NS6detail20lookback_scan_kernelILNS1_25lookback_scan_determinismE0ELb0ENS1_19wrapped_scan_configINS0_14default_configEiEEPKiPlSt4plusIvEiiNS1_19lookback_scan_stateIiLb0ELb1EEEEEvT2_T3_mT5_T4_T7_jPT6_SK_bb: ; @_ZN7rocprim17ROCPRIM_304000_NS6detail20lookback_scan_kernelILNS1_25lookback_scan_determinismE0ELb0ENS1_19wrapped_scan_configINS0_14default_configEiEEPKiPlSt4plusIvEiiNS1_19lookback_scan_stateIiLb0ELb1EEEEEvT2_T3_mT5_T4_T7_jPT6_SK_bb
; %bb.0:
	s_load_dword s2, s[4:5], 0x28
	s_load_dwordx4 s[24:27], s[4:5], 0x0
	s_load_dwordx2 s[0:1], s[4:5], 0x10
	s_mul_i32 s28, s6, 0xf00
	s_mov_b32 s29, 0
	s_waitcnt lgkmcnt(0)
	s_add_i32 s2, s2, -1
	s_mul_i32 s3, s2, 0xf00
	s_sub_u32 s23, s0, s3
	s_subb_u32 s33, s1, 0
	s_cmp_lg_u32 s6, s2
	s_cselect_b64 s[30:31], -1, 0
	s_lshl_b64 s[0:1], s[28:29], 2
	s_add_u32 s2, s24, s0
	s_addc_u32 s3, s25, s1
	s_mov_b64 s[0:1], -1
	s_and_b64 vcc, exec, s[30:31]
	v_lshlrev_b32_e32 v31, 2, v0
	s_cbranch_vccz .LBB13_2
; %bb.1:
	v_mov_b32_e32 v1, s3
	v_add_co_u32_e32 v5, vcc, s2, v31
	v_addc_co_u32_e32 v6, vcc, 0, v1, vcc
	v_add_co_u32_e32 v1, vcc, 0x1000, v5
	v_addc_co_u32_e32 v2, vcc, 0, v6, vcc
	;; [unrolled: 2-line block ×3, first 2 shown]
	global_load_dword v7, v31, s[2:3]
	global_load_dword v8, v31, s[2:3] offset:1024
	global_load_dword v9, v31, s[2:3] offset:2048
	;; [unrolled: 1-line block ×3, first 2 shown]
	global_load_dword v11, v[1:2], off
	global_load_dword v12, v[1:2], off offset:1024
	global_load_dword v13, v[1:2], off offset:2048
	;; [unrolled: 1-line block ×3, first 2 shown]
	global_load_dword v15, v[3:4], off
	global_load_dword v16, v[3:4], off offset:1024
	global_load_dword v17, v[3:4], off offset:2048
	global_load_dword v18, v[3:4], off offset:3072
	v_add_co_u32_e32 v1, vcc, 0x3000, v5
	v_addc_co_u32_e32 v2, vcc, 0, v6, vcc
	global_load_dword v3, v[1:2], off
	global_load_dword v4, v[1:2], off offset:1024
	global_load_dword v5, v[1:2], off offset:2048
	s_mov_b64 s[0:1], 0
	s_waitcnt vmcnt(13)
	ds_write2st64_b32 v31, v7, v8 offset1:4
	s_waitcnt vmcnt(11)
	ds_write2st64_b32 v31, v9, v10 offset0:8 offset1:12
	s_waitcnt vmcnt(9)
	ds_write2st64_b32 v31, v11, v12 offset0:16 offset1:20
	;; [unrolled: 2-line block ×6, first 2 shown]
	s_waitcnt vmcnt(0)
	ds_write_b32 v31, v5 offset:14336
	s_waitcnt lgkmcnt(0)
	s_barrier
.LBB13_2:
	s_andn2_b64 vcc, exec, s[0:1]
	v_cmp_gt_u32_e64 s[0:1], s23, v0
	s_cbranch_vccnz .LBB13_34
; %bb.3:
	s_load_dword s8, s[2:3], 0x0
	v_mov_b32_e32 v1, s3
	v_add_co_u32_e32 v17, vcc, s2, v31
	v_addc_co_u32_e32 v18, vcc, 0, v1, vcc
	s_waitcnt lgkmcnt(0)
	s_mov_b32 s9, s8
	s_mov_b32 s10, s8
	;; [unrolled: 1-line block ×14, first 2 shown]
	v_mov_b32_e32 v1, s8
	v_mov_b32_e32 v2, s9
	;; [unrolled: 1-line block ×16, first 2 shown]
	s_and_saveexec_b64 s[2:3], s[0:1]
	s_cbranch_execz .LBB13_5
; %bb.4:
	global_load_dword v1, v[17:18], off
	v_mov_b32_e32 v2, s8
	v_mov_b32_e32 v3, s8
	;; [unrolled: 1-line block ×14, first 2 shown]
.LBB13_5:
	s_or_b64 exec, exec, s[2:3]
	v_or_b32_e32 v16, 0x100, v0
	v_cmp_gt_u32_e32 vcc, s23, v16
	s_and_saveexec_b64 s[0:1], vcc
	s_cbranch_execz .LBB13_7
; %bb.6:
	global_load_dword v2, v[17:18], off offset:1024
.LBB13_7:
	s_or_b64 exec, exec, s[0:1]
	v_or_b32_e32 v16, 0x200, v0
	v_cmp_gt_u32_e32 vcc, s23, v16
	s_and_saveexec_b64 s[0:1], vcc
	s_cbranch_execz .LBB13_9
; %bb.8:
	global_load_dword v3, v[17:18], off offset:2048
.LBB13_9:
	;; [unrolled: 8-line block ×3, first 2 shown]
	s_or_b64 exec, exec, s[0:1]
	v_or_b32_e32 v16, 0x400, v0
	v_cmp_gt_u32_e32 vcc, s23, v16
	s_and_saveexec_b64 s[0:1], vcc
	s_cbranch_execz .LBB13_13
; %bb.12:
	v_add_co_u32_e32 v19, vcc, 0x1000, v17
	v_addc_co_u32_e32 v20, vcc, 0, v18, vcc
	global_load_dword v5, v[19:20], off
.LBB13_13:
	s_or_b64 exec, exec, s[0:1]
	v_or_b32_e32 v16, 0x500, v0
	v_cmp_gt_u32_e32 vcc, s23, v16
	s_and_saveexec_b64 s[0:1], vcc
	s_cbranch_execz .LBB13_15
; %bb.14:
	v_add_co_u32_e32 v19, vcc, 0x1000, v17
	v_addc_co_u32_e32 v20, vcc, 0, v18, vcc
	global_load_dword v6, v[19:20], off offset:1024
.LBB13_15:
	s_or_b64 exec, exec, s[0:1]
	v_or_b32_e32 v16, 0x600, v0
	v_cmp_gt_u32_e32 vcc, s23, v16
	s_and_saveexec_b64 s[0:1], vcc
	s_cbranch_execz .LBB13_17
; %bb.16:
	v_add_co_u32_e32 v19, vcc, 0x1000, v17
	v_addc_co_u32_e32 v20, vcc, 0, v18, vcc
	global_load_dword v7, v[19:20], off offset:2048
.LBB13_17:
	;; [unrolled: 10-line block ×3, first 2 shown]
	s_or_b64 exec, exec, s[0:1]
	v_or_b32_e32 v16, 0x800, v0
	v_cmp_gt_u32_e32 vcc, s23, v16
	s_and_saveexec_b64 s[0:1], vcc
	s_cbranch_execz .LBB13_21
; %bb.20:
	v_add_co_u32_e32 v19, vcc, 0x2000, v17
	v_addc_co_u32_e32 v20, vcc, 0, v18, vcc
	global_load_dword v9, v[19:20], off
.LBB13_21:
	s_or_b64 exec, exec, s[0:1]
	v_or_b32_e32 v16, 0x900, v0
	v_cmp_gt_u32_e32 vcc, s23, v16
	s_and_saveexec_b64 s[0:1], vcc
	s_cbranch_execz .LBB13_23
; %bb.22:
	v_add_co_u32_e32 v19, vcc, 0x2000, v17
	v_addc_co_u32_e32 v20, vcc, 0, v18, vcc
	global_load_dword v10, v[19:20], off offset:1024
.LBB13_23:
	s_or_b64 exec, exec, s[0:1]
	v_or_b32_e32 v16, 0xa00, v0
	v_cmp_gt_u32_e32 vcc, s23, v16
	s_and_saveexec_b64 s[0:1], vcc
	s_cbranch_execz .LBB13_25
; %bb.24:
	v_add_co_u32_e32 v19, vcc, 0x2000, v17
	v_addc_co_u32_e32 v20, vcc, 0, v18, vcc
	global_load_dword v11, v[19:20], off offset:2048
.LBB13_25:
	s_or_b64 exec, exec, s[0:1]
	v_or_b32_e32 v16, 0xb00, v0
	v_cmp_gt_u32_e32 vcc, s23, v16
	s_and_saveexec_b64 s[0:1], vcc
	s_cbranch_execz .LBB13_27
; %bb.26:
	v_add_co_u32_e32 v19, vcc, 0x2000, v17
	v_addc_co_u32_e32 v20, vcc, 0, v18, vcc
	global_load_dword v12, v[19:20], off offset:3072
.LBB13_27:
	s_or_b64 exec, exec, s[0:1]
	v_or_b32_e32 v16, 0xc00, v0
	v_cmp_gt_u32_e32 vcc, s23, v16
	s_and_saveexec_b64 s[0:1], vcc
	s_cbranch_execz .LBB13_29
; %bb.28:
	v_add_co_u32_e32 v19, vcc, 0x3000, v17
	v_addc_co_u32_e32 v20, vcc, 0, v18, vcc
	global_load_dword v13, v[19:20], off
.LBB13_29:
	s_or_b64 exec, exec, s[0:1]
	v_or_b32_e32 v16, 0xd00, v0
	v_cmp_gt_u32_e32 vcc, s23, v16
	s_and_saveexec_b64 s[0:1], vcc
	s_cbranch_execz .LBB13_31
; %bb.30:
	v_add_co_u32_e32 v19, vcc, 0x3000, v17
	v_addc_co_u32_e32 v20, vcc, 0, v18, vcc
	global_load_dword v14, v[19:20], off offset:1024
.LBB13_31:
	s_or_b64 exec, exec, s[0:1]
	v_or_b32_e32 v16, 0xe00, v0
	v_cmp_gt_u32_e32 vcc, s23, v16
	s_and_saveexec_b64 s[0:1], vcc
	s_cbranch_execz .LBB13_33
; %bb.32:
	v_add_co_u32_e32 v15, vcc, 0x3000, v17
	v_addc_co_u32_e32 v16, vcc, 0, v18, vcc
	global_load_dword v15, v[15:16], off offset:2048
.LBB13_33:
	s_or_b64 exec, exec, s[0:1]
	s_waitcnt vmcnt(0)
	ds_write2st64_b32 v31, v1, v2 offset1:4
	ds_write2st64_b32 v31, v3, v4 offset0:8 offset1:12
	ds_write2st64_b32 v31, v5, v6 offset0:16 offset1:20
	;; [unrolled: 1-line block ×6, first 2 shown]
	ds_write_b32 v31, v15 offset:14336
	s_waitcnt lgkmcnt(0)
	s_barrier
.LBB13_34:
	v_mul_u32_u24_e32 v32, 60, v0
	ds_read2_b32 v[1:2], v32 offset1:1
	ds_read2_b32 v[29:30], v32 offset0:2 offset1:3
	ds_read2_b32 v[27:28], v32 offset0:4 offset1:5
	;; [unrolled: 1-line block ×6, first 2 shown]
	ds_read_b32 v33, v32 offset:56
	s_load_dwordx2 s[12:13], s[4:5], 0x20
	s_cmp_lg_u32 s6, 0
	v_lshrrev_b32_e32 v34, 3, v0
	v_cmp_gt_u32_e32 vcc, 64, v0
	s_waitcnt lgkmcnt(0)
	s_barrier
	s_cbranch_scc0 .LBB13_54
; %bb.35:
	v_add3_u32 v3, v2, v1, v29
	v_add3_u32 v3, v3, v30, v27
	;; [unrolled: 1-line block ×6, first 2 shown]
	v_and_b32_e32 v4, 28, v34
	v_add3_u32 v3, v3, v20, v33
	v_lshl_add_u32 v4, v0, 2, v4
	ds_write_b32 v4, v3
	s_waitcnt lgkmcnt(0)
	s_barrier
	s_and_saveexec_b64 s[2:3], vcc
	s_cbranch_execz .LBB13_37
; %bb.36:
	v_lshrrev_b32_e32 v4, 1, v0
	v_and_b32_e32 v4, 0x7c, v4
	v_lshl_add_u32 v8, v0, 4, v4
	ds_read2_b32 v[4:5], v8 offset1:1
	ds_read2_b32 v[6:7], v8 offset0:2 offset1:3
	v_mbcnt_lo_u32_b32 v9, -1, 0
	v_mbcnt_hi_u32_b32 v9, -1, v9
	v_and_b32_e32 v10, 15, v9
	s_waitcnt lgkmcnt(1)
	v_add_u32_e32 v11, v5, v4
	s_waitcnt lgkmcnt(0)
	v_add3_u32 v11, v11, v6, v7
	v_cmp_ne_u32_e64 s[0:1], 0, v10
	s_nop 0
	v_mov_b32_dpp v12, v11 row_shr:1 row_mask:0xf bank_mask:0xf
	v_cndmask_b32_e64 v12, 0, v12, s[0:1]
	v_add_u32_e32 v11, v12, v11
	v_cmp_lt_u32_e64 s[0:1], 1, v10
	s_nop 0
	v_mov_b32_dpp v12, v11 row_shr:2 row_mask:0xf bank_mask:0xf
	v_cndmask_b32_e64 v12, 0, v12, s[0:1]
	v_add_u32_e32 v11, v11, v12
	v_cmp_lt_u32_e64 s[0:1], 3, v10
	;; [unrolled: 5-line block ×3, first 2 shown]
	s_nop 0
	v_mov_b32_dpp v12, v11 row_shr:8 row_mask:0xf bank_mask:0xf
	v_cndmask_b32_e64 v10, 0, v12, s[0:1]
	v_add_u32_e32 v10, v11, v10
	v_bfe_i32 v12, v9, 4, 1
	v_cmp_lt_u32_e64 s[0:1], 31, v9
	v_mov_b32_dpp v11, v10 row_bcast:15 row_mask:0xf bank_mask:0xf
	v_and_b32_e32 v11, v12, v11
	v_add_u32_e32 v10, v10, v11
	v_and_b32_e32 v12, 64, v9
	s_nop 0
	v_mov_b32_dpp v11, v10 row_bcast:31 row_mask:0xf bank_mask:0xf
	v_cndmask_b32_e64 v11, 0, v11, s[0:1]
	v_add_u32_e32 v10, v10, v11
	v_add_u32_e32 v11, -1, v9
	v_cmp_lt_i32_e64 s[0:1], v11, v12
	v_cndmask_b32_e64 v9, v11, v9, s[0:1]
	v_lshlrev_b32_e32 v9, 2, v9
	ds_bpermute_b32 v9, v9, v10
	v_cmp_eq_u32_e64 s[0:1], 0, v0
	s_waitcnt lgkmcnt(0)
	v_add_u32_e32 v4, v9, v4
	v_cndmask_b32_e64 v3, v4, v3, s[0:1]
	v_add_u32_e32 v4, v3, v5
	ds_write2_b32 v8, v3, v4 offset1:1
	v_add_u32_e32 v3, v4, v6
	v_add_u32_e32 v4, v3, v7
	ds_write2_b32 v8, v3, v4 offset0:2 offset1:3
.LBB13_37:
	s_or_b64 exec, exec, s[2:3]
	v_mov_b32_e32 v12, 0
	v_cmp_eq_u32_e64 s[0:1], 0, v0
	v_cmp_ne_u32_e64 s[2:3], 0, v0
	s_waitcnt lgkmcnt(0)
	s_barrier
	s_and_saveexec_b64 s[8:9], s[2:3]
; %bb.38:
	v_add_u32_e32 v3, -1, v0
	v_lshrrev_b32_e32 v4, 3, v3
	v_and_b32_e32 v4, 0x1ffffffc, v4
	v_lshl_add_u32 v3, v3, 2, v4
	ds_read_b32 v12, v3
; %bb.39:
	s_or_b64 exec, exec, s[8:9]
	s_and_saveexec_b64 s[8:9], vcc
	s_cbranch_execz .LBB13_59
; %bb.40:
	v_mov_b32_e32 v8, 0
	ds_read_b32 v3, v8 offset:1048
	v_mbcnt_lo_u32_b32 v4, -1, 0
	v_mbcnt_hi_u32_b32 v5, -1, v4
	s_mov_b32 s15, 0
	v_cmp_eq_u32_e64 s[2:3], 0, v5
	s_and_saveexec_b64 s[10:11], s[2:3]
	s_cbranch_execz .LBB13_42
; %bb.41:
	s_add_i32 s14, s6, 64
	s_lshl_b64 s[14:15], s[14:15], 3
	s_add_u32 s14, s12, s14
	v_mov_b32_e32 v4, 1
	s_addc_u32 s15, s13, s15
	s_waitcnt lgkmcnt(0)
	global_store_dwordx2 v8, v[3:4], s[14:15]
.LBB13_42:
	s_or_b64 exec, exec, s[10:11]
	v_xad_u32 v4, v5, -1, s6
	v_add_u32_e32 v7, 64, v4
	v_lshlrev_b64 v[6:7], 3, v[7:8]
	v_mov_b32_e32 v10, s13
	v_add_co_u32_e32 v9, vcc, s12, v6
	v_addc_co_u32_e32 v10, vcc, v10, v7, vcc
	global_load_dwordx2 v[6:7], v[9:10], off glc
	s_waitcnt vmcnt(0)
	v_cmp_eq_u16_sdwa s[14:15], v7, v8 src0_sel:BYTE_0 src1_sel:DWORD
	s_and_saveexec_b64 s[10:11], s[14:15]
	s_cbranch_execz .LBB13_46
; %bb.43:
	s_mov_b64 s[14:15], 0
	v_mov_b32_e32 v8, 0
.LBB13_44:                              ; =>This Inner Loop Header: Depth=1
	global_load_dwordx2 v[6:7], v[9:10], off glc
	s_waitcnt vmcnt(0)
	v_cmp_ne_u16_sdwa s[16:17], v7, v8 src0_sel:BYTE_0 src1_sel:DWORD
	s_or_b64 s[14:15], s[16:17], s[14:15]
	s_andn2_b64 exec, exec, s[14:15]
	s_cbranch_execnz .LBB13_44
; %bb.45:
	s_or_b64 exec, exec, s[14:15]
.LBB13_46:
	s_or_b64 exec, exec, s[10:11]
	v_and_b32_e32 v36, 63, v5
	v_mov_b32_e32 v13, 2
	v_lshlrev_b64 v[8:9], v5, -1
	v_cmp_ne_u32_e32 vcc, 63, v36
	v_cmp_eq_u16_sdwa s[10:11], v7, v13 src0_sel:BYTE_0 src1_sel:DWORD
	v_addc_co_u32_e32 v14, vcc, 0, v5, vcc
	v_and_b32_e32 v10, s11, v9
	v_lshlrev_b32_e32 v14, 2, v14
	v_or_b32_e32 v10, 0x80000000, v10
	ds_bpermute_b32 v16, v14, v6
	v_and_b32_e32 v11, s10, v8
	v_ffbl_b32_e32 v10, v10
	v_add_u32_e32 v10, 32, v10
	v_ffbl_b32_e32 v11, v11
	v_min_u32_e32 v10, v11, v10
	v_add_u32_e32 v15, 1, v5
	v_cmp_le_u32_e32 vcc, v15, v10
	s_waitcnt lgkmcnt(0)
	v_cndmask_b32_e32 v11, 0, v16, vcc
	v_cmp_gt_u32_e32 vcc, 62, v36
	v_add_u32_e32 v6, v11, v6
	v_cndmask_b32_e64 v11, 0, 2, vcc
	v_add_lshl_u32 v16, v11, v5, 2
	ds_bpermute_b32 v11, v16, v6
	v_add_u32_e32 v17, 2, v5
	v_cmp_le_u32_e32 vcc, v17, v10
	v_add_u32_e32 v35, 4, v5
	v_add_u32_e32 v38, 8, v5
	s_waitcnt lgkmcnt(0)
	v_cndmask_b32_e32 v11, 0, v11, vcc
	v_cmp_gt_u32_e32 vcc, 60, v36
	v_add_u32_e32 v6, v6, v11
	v_cndmask_b32_e64 v11, 0, 4, vcc
	v_add_lshl_u32 v18, v11, v5, 2
	ds_bpermute_b32 v11, v18, v6
	v_cmp_le_u32_e32 vcc, v35, v10
	v_add_u32_e32 v40, 16, v5
	v_add_u32_e32 v42, 32, v5
	s_waitcnt lgkmcnt(0)
	v_cndmask_b32_e32 v11, 0, v11, vcc
	v_cmp_gt_u32_e32 vcc, 56, v36
	v_add_u32_e32 v6, v6, v11
	v_cndmask_b32_e64 v11, 0, 8, vcc
	v_add_lshl_u32 v37, v11, v5, 2
	ds_bpermute_b32 v11, v37, v6
	v_cmp_le_u32_e32 vcc, v38, v10
	s_waitcnt lgkmcnt(0)
	v_cndmask_b32_e32 v11, 0, v11, vcc
	v_cmp_gt_u32_e32 vcc, 48, v36
	v_add_u32_e32 v6, v6, v11
	v_cndmask_b32_e64 v11, 0, 16, vcc
	v_add_lshl_u32 v39, v11, v5, 2
	ds_bpermute_b32 v11, v39, v6
	v_cmp_le_u32_e32 vcc, v40, v10
	s_waitcnt lgkmcnt(0)
	v_cndmask_b32_e32 v11, 0, v11, vcc
	v_add_u32_e32 v6, v6, v11
	v_mov_b32_e32 v11, 0x80
	v_lshl_or_b32 v41, v5, 2, v11
	ds_bpermute_b32 v11, v41, v6
	v_cmp_le_u32_e32 vcc, v42, v10
	s_waitcnt lgkmcnt(0)
	v_cndmask_b32_e32 v5, 0, v11, vcc
	v_add_u32_e32 v6, v6, v5
	v_mov_b32_e32 v5, 0
	s_branch .LBB13_50
.LBB13_47:                              ;   in Loop: Header=BB13_50 Depth=1
	s_or_b64 exec, exec, s[14:15]
.LBB13_48:                              ;   in Loop: Header=BB13_50 Depth=1
	s_or_b64 exec, exec, s[10:11]
	v_cmp_eq_u16_sdwa s[10:11], v7, v13 src0_sel:BYTE_0 src1_sel:DWORD
	v_and_b32_e32 v10, s11, v9
	v_or_b32_e32 v10, 0x80000000, v10
	ds_bpermute_b32 v43, v14, v6
	v_and_b32_e32 v11, s10, v8
	v_ffbl_b32_e32 v10, v10
	v_add_u32_e32 v10, 32, v10
	v_ffbl_b32_e32 v11, v11
	v_min_u32_e32 v10, v11, v10
	v_cmp_le_u32_e32 vcc, v15, v10
	s_waitcnt lgkmcnt(0)
	v_cndmask_b32_e32 v11, 0, v43, vcc
	v_add_u32_e32 v6, v11, v6
	ds_bpermute_b32 v11, v16, v6
	v_cmp_le_u32_e32 vcc, v17, v10
	v_subrev_u32_e32 v4, 64, v4
	s_mov_b64 s[10:11], 0
	s_waitcnt lgkmcnt(0)
	v_cndmask_b32_e32 v11, 0, v11, vcc
	v_add_u32_e32 v6, v6, v11
	ds_bpermute_b32 v11, v18, v6
	v_cmp_le_u32_e32 vcc, v35, v10
	s_waitcnt lgkmcnt(0)
	v_cndmask_b32_e32 v11, 0, v11, vcc
	v_add_u32_e32 v6, v6, v11
	ds_bpermute_b32 v11, v37, v6
	v_cmp_le_u32_e32 vcc, v38, v10
	;; [unrolled: 5-line block ×4, first 2 shown]
	s_waitcnt lgkmcnt(0)
	v_cndmask_b32_e32 v10, 0, v11, vcc
	v_add3_u32 v6, v10, v36, v6
.LBB13_49:                              ;   in Loop: Header=BB13_50 Depth=1
	s_and_b64 vcc, exec, s[10:11]
	s_cbranch_vccnz .LBB13_55
.LBB13_50:                              ; =>This Loop Header: Depth=1
                                        ;     Child Loop BB13_53 Depth 2
	v_cmp_ne_u16_sdwa s[10:11], v7, v13 src0_sel:BYTE_0 src1_sel:DWORD
	v_mov_b32_e32 v36, v6
	s_cmp_lg_u64 s[10:11], exec
	s_mov_b64 s[10:11], -1
                                        ; implicit-def: $vgpr6
                                        ; implicit-def: $vgpr7
	s_cbranch_scc1 .LBB13_49
; %bb.51:                               ;   in Loop: Header=BB13_50 Depth=1
	v_lshlrev_b64 v[6:7], 3, v[4:5]
	v_mov_b32_e32 v11, s13
	v_add_co_u32_e32 v10, vcc, s12, v6
	v_addc_co_u32_e32 v11, vcc, v11, v7, vcc
	global_load_dwordx2 v[6:7], v[10:11], off glc
	s_waitcnt vmcnt(0)
	v_cmp_eq_u16_sdwa s[14:15], v7, v5 src0_sel:BYTE_0 src1_sel:DWORD
	s_and_saveexec_b64 s[10:11], s[14:15]
	s_cbranch_execz .LBB13_48
; %bb.52:                               ;   in Loop: Header=BB13_50 Depth=1
	s_mov_b64 s[14:15], 0
.LBB13_53:                              ;   Parent Loop BB13_50 Depth=1
                                        ; =>  This Inner Loop Header: Depth=2
	global_load_dwordx2 v[6:7], v[10:11], off glc
	s_waitcnt vmcnt(0)
	v_cmp_ne_u16_sdwa s[16:17], v7, v5 src0_sel:BYTE_0 src1_sel:DWORD
	s_or_b64 s[14:15], s[16:17], s[14:15]
	s_andn2_b64 exec, exec, s[14:15]
	s_cbranch_execnz .LBB13_53
	s_branch .LBB13_47
.LBB13_54:
                                        ; implicit-def: $vgpr3_vgpr4_vgpr5_vgpr6_vgpr7_vgpr8_vgpr9_vgpr10_vgpr11_vgpr12_vgpr13_vgpr14_vgpr15_vgpr16_vgpr17_vgpr18
	s_load_dwordx4 s[8:11], s[4:5], 0x30
	s_cbranch_execnz .LBB13_60
	s_branch .LBB13_69
.LBB13_55:
	s_and_saveexec_b64 s[10:11], s[2:3]
	s_cbranch_execz .LBB13_57
; %bb.56:
	s_add_i32 s2, s6, 64
	s_mov_b32 s3, 0
	s_lshl_b64 s[2:3], s[2:3], 3
	s_add_u32 s2, s12, s2
	v_add_u32_e32 v3, v36, v3
	v_mov_b32_e32 v4, 2
	s_addc_u32 s3, s13, s3
	v_mov_b32_e32 v5, 0
	global_store_dwordx2 v5, v[3:4], s[2:3]
.LBB13_57:
	s_or_b64 exec, exec, s[10:11]
	s_and_b64 exec, exec, s[0:1]
; %bb.58:
	v_mov_b32_e32 v3, 0
	ds_write_b32 v3, v36
.LBB13_59:
	s_or_b64 exec, exec, s[8:9]
	v_mov_b32_e32 v3, 0
	s_waitcnt vmcnt(0) lgkmcnt(0)
	s_barrier
	ds_read_b32 v3, v3
	s_waitcnt lgkmcnt(0)
	v_add3_u32 v3, v12, v1, v3
	v_add_u32_e32 v4, v3, v2
	v_add_u32_e32 v5, v4, v29
	;; [unrolled: 1-line block ×14, first 2 shown]
	s_load_dwordx4 s[8:11], s[4:5], 0x30
	s_branch .LBB13_69
.LBB13_60:
	s_load_dword s2, s[4:5], 0x40
	v_cmp_eq_u32_e32 vcc, 0, v0
	v_cmp_ne_u32_e64 s[0:1], 0, v0
	s_waitcnt lgkmcnt(0)
	s_bitcmp1_b32 s2, 0
	s_cselect_b64 s[2:3], -1, 0
	s_and_b64 s[6:7], vcc, s[2:3]
	s_and_saveexec_b64 s[2:3], s[6:7]
	s_cbranch_execz .LBB13_62
; %bb.61:
	v_mov_b32_e32 v3, 0
	global_load_dword v3, v3, s[8:9]
	s_waitcnt vmcnt(0)
	v_add_u32_e32 v1, v3, v1
.LBB13_62:
	s_or_b64 exec, exec, s[2:3]
	v_add_u32_e32 v16, v2, v1
	v_add_u32_e32 v3, v16, v29
	;; [unrolled: 1-line block ×13, first 2 shown]
	v_and_b32_e32 v17, 28, v34
	v_add_u32_e32 v15, v14, v33
	v_lshl_add_u32 v17, v0, 2, v17
	v_cmp_gt_u32_e64 s[2:3], 64, v0
	ds_write_b32 v17, v15
	s_waitcnt lgkmcnt(0)
	s_barrier
	s_and_saveexec_b64 s[6:7], s[2:3]
	s_cbranch_execz .LBB13_64
; %bb.63:
	v_lshrrev_b32_e32 v17, 1, v0
	v_and_b32_e32 v17, 0x7c, v17
	v_lshl_add_u32 v36, v0, 4, v17
	ds_read2_b32 v[17:18], v36 offset1:1
	ds_read2_b32 v[34:35], v36 offset0:2 offset1:3
	v_mbcnt_lo_u32_b32 v37, -1, 0
	v_mbcnt_hi_u32_b32 v37, -1, v37
	v_and_b32_e32 v38, 15, v37
	s_waitcnt lgkmcnt(1)
	v_add_u32_e32 v39, v18, v17
	s_waitcnt lgkmcnt(0)
	v_add3_u32 v39, v39, v34, v35
	v_cmp_ne_u32_e64 s[2:3], 0, v38
	s_nop 0
	v_mov_b32_dpp v40, v39 row_shr:1 row_mask:0xf bank_mask:0xf
	v_cndmask_b32_e64 v40, 0, v40, s[2:3]
	v_add_u32_e32 v39, v40, v39
	v_cmp_lt_u32_e64 s[2:3], 1, v38
	s_nop 0
	v_mov_b32_dpp v40, v39 row_shr:2 row_mask:0xf bank_mask:0xf
	v_cndmask_b32_e64 v40, 0, v40, s[2:3]
	v_add_u32_e32 v39, v39, v40
	v_cmp_lt_u32_e64 s[2:3], 3, v38
	;; [unrolled: 5-line block ×3, first 2 shown]
	s_nop 0
	v_mov_b32_dpp v40, v39 row_shr:8 row_mask:0xf bank_mask:0xf
	v_cndmask_b32_e64 v38, 0, v40, s[2:3]
	v_add_u32_e32 v38, v39, v38
	v_bfe_i32 v40, v37, 4, 1
	v_cmp_lt_u32_e64 s[2:3], 31, v37
	v_mov_b32_dpp v39, v38 row_bcast:15 row_mask:0xf bank_mask:0xf
	v_and_b32_e32 v39, v40, v39
	v_add_u32_e32 v38, v38, v39
	v_and_b32_e32 v40, 64, v37
	s_nop 0
	v_mov_b32_dpp v39, v38 row_bcast:31 row_mask:0xf bank_mask:0xf
	v_cndmask_b32_e64 v39, 0, v39, s[2:3]
	v_add_u32_e32 v38, v38, v39
	v_add_u32_e32 v39, -1, v37
	v_cmp_lt_i32_e64 s[2:3], v39, v40
	v_cndmask_b32_e64 v37, v39, v37, s[2:3]
	v_lshlrev_b32_e32 v37, 2, v37
	ds_bpermute_b32 v37, v37, v38
	s_waitcnt lgkmcnt(0)
	v_add_u32_e32 v17, v37, v17
	v_cndmask_b32_e32 v17, v17, v15, vcc
	v_add_u32_e32 v18, v17, v18
	ds_write2_b32 v36, v17, v18 offset1:1
	v_add_u32_e32 v17, v18, v34
	v_add_u32_e32 v18, v17, v35
	ds_write2_b32 v36, v17, v18 offset0:2 offset1:3
.LBB13_64:
	s_or_b64 exec, exec, s[6:7]
	s_waitcnt lgkmcnt(0)
	s_barrier
	s_and_saveexec_b64 s[2:3], s[0:1]
	s_cbranch_execz .LBB13_66
; %bb.65:
	v_add_u32_e32 v3, -1, v0
	v_lshrrev_b32_e32 v4, 3, v3
	v_and_b32_e32 v4, 0x1ffffffc, v4
	v_lshl_add_u32 v3, v3, 2, v4
	ds_read_b32 v3, v3
	s_waitcnt lgkmcnt(0)
	v_add_u32_e32 v1, v3, v1
	v_add_u32_e32 v16, v1, v2
	v_add_u32_e32 v3, v16, v29
	v_add_u32_e32 v4, v3, v30
	v_add_u32_e32 v5, v4, v27
	v_add_u32_e32 v6, v5, v28
	v_add_u32_e32 v7, v6, v25
	v_add_u32_e32 v8, v7, v26
	v_add_u32_e32 v9, v8, v23
	v_add_u32_e32 v10, v9, v24
	v_add_u32_e32 v11, v10, v21
	v_add_u32_e32 v12, v11, v22
	v_add_u32_e32 v13, v12, v19
	v_add_u32_e32 v14, v13, v20
	v_add_u32_e32 v15, v14, v33
.LBB13_66:
	s_or_b64 exec, exec, s[2:3]
	s_and_saveexec_b64 s[0:1], vcc
	s_cbranch_execz .LBB13_68
; %bb.67:
	v_mov_b32_e32 v2, 0
	ds_read_b32 v17, v2 offset:1048
	v_mov_b32_e32 v18, 2
	s_waitcnt lgkmcnt(0)
	global_store_dwordx2 v2, v[17:18], s[12:13] offset:512
.LBB13_68:
	s_or_b64 exec, exec, s[0:1]
	v_mov_b32_e32 v2, v16
	v_mov_b32_e32 v18, v16
	;; [unrolled: 1-line block ×17, first 2 shown]
.LBB13_69:
	s_lshl_b64 s[0:1], s[28:29], 3
	s_add_u32 s0, s26, s0
	s_addc_u32 s1, s27, s1
	s_mov_b64 s[2:3], -1
	s_and_b64 vcc, exec, s[30:31]
	v_lshlrev_b32_e32 v18, 3, v0
	s_waitcnt vmcnt(0) lgkmcnt(0)
	s_barrier
	s_cbranch_vccz .LBB13_71
; %bb.70:
	ds_write2_b32 v32, v3, v4 offset1:1
	ds_write2_b32 v32, v5, v6 offset0:2 offset1:3
	ds_write2_b32 v32, v7, v8 offset0:4 offset1:5
	;; [unrolled: 1-line block ×6, first 2 shown]
	ds_write_b32 v32, v17 offset:56
	s_waitcnt lgkmcnt(0)
	s_barrier
	ds_read2st64_b32 v[1:2], v31 offset1:4
	ds_read2st64_b32 v[19:20], v31 offset0:8 offset1:12
	ds_read2st64_b32 v[25:26], v31 offset0:16 offset1:20
	;; [unrolled: 1-line block ×4, first 2 shown]
	s_waitcnt lgkmcnt(4)
	v_ashrrev_i32_e32 v22, 31, v1
	v_mov_b32_e32 v21, v1
	v_ashrrev_i32_e32 v24, 31, v2
	v_mov_b32_e32 v23, v2
	s_waitcnt lgkmcnt(3)
	v_ashrrev_i32_e32 v2, 31, v19
	v_mov_b32_e32 v1, v19
	v_ashrrev_i32_e32 v28, 31, v20
	v_mov_b32_e32 v27, v20
	ds_read2st64_b32 v[19:20], v31 offset0:24 offset1:28
	s_waitcnt lgkmcnt(3)
	v_ashrrev_i32_e32 v30, 31, v25
	v_mov_b32_e32 v29, v25
	v_ashrrev_i32_e32 v34, 31, v26
	v_mov_b32_e32 v33, v26
	s_waitcnt lgkmcnt(0)
	v_ashrrev_i32_e32 v26, 31, v19
	v_mov_b32_e32 v25, v19
	v_ashrrev_i32_e32 v38, 31, v20
	v_mov_b32_e32 v37, v20
	ds_read2st64_b32 v[19:20], v31 offset0:40 offset1:44
	v_ashrrev_i32_e32 v48, 31, v43
	v_mov_b32_e32 v47, v43
	v_ashrrev_i32_e32 v50, 31, v44
	v_mov_b32_e32 v49, v44
	v_mov_b32_e32 v43, s1
	v_add_co_u32_e32 v44, vcc, s0, v18
	v_addc_co_u32_e32 v43, vcc, 0, v43, vcc
	s_movk_i32 s2, 0x1000
	v_ashrrev_i32_e32 v40, 31, v35
	v_mov_b32_e32 v39, v35
	v_ashrrev_i32_e32 v42, 31, v36
	v_mov_b32_e32 v41, v36
	s_waitcnt lgkmcnt(0)
	v_ashrrev_i32_e32 v36, 31, v19
	v_mov_b32_e32 v35, v19
	ds_read_b32 v19, v31 offset:14336
	global_store_dwordx2 v18, v[21:22], s[0:1]
	global_store_dwordx2 v18, v[23:24], s[0:1] offset:2048
	v_add_co_u32_e32 v21, vcc, s2, v44
	v_addc_co_u32_e32 v22, vcc, 0, v43, vcc
	s_movk_i32 s2, 0x2000
	v_add_co_u32_e32 v23, vcc, s2, v44
	v_addc_co_u32_e32 v24, vcc, 0, v43, vcc
	s_movk_i32 s2, 0x3000
	global_store_dwordx2 v[23:24], v[1:2], off offset:-4096
	global_store_dwordx2 v[21:22], v[27:28], off offset:2048
	global_store_dwordx2 v[23:24], v[29:30], off
	global_store_dwordx2 v[23:24], v[33:34], off offset:2048
	v_add_co_u32_e32 v1, vcc, s2, v44
	v_addc_co_u32_e32 v2, vcc, 0, v43, vcc
	s_movk_i32 s2, 0x4000
	v_add_co_u32_e32 v21, vcc, s2, v44
	v_addc_co_u32_e32 v22, vcc, 0, v43, vcc
	s_movk_i32 s2, 0x5000
	global_store_dwordx2 v[21:22], v[25:26], off offset:-4096
	global_store_dwordx2 v[1:2], v[37:38], off offset:2048
	global_store_dwordx2 v[21:22], v[39:40], off
	global_store_dwordx2 v[21:22], v[41:42], off offset:2048
	v_add_co_u32_e32 v1, vcc, s2, v44
	v_addc_co_u32_e32 v2, vcc, 0, v43, vcc
	v_ashrrev_i32_e32 v46, 31, v20
	v_mov_b32_e32 v45, v20
	global_store_dwordx2 v[1:2], v[35:36], off
	global_store_dwordx2 v[1:2], v[45:46], off offset:2048
	v_add_co_u32_e32 v1, vcc, 0x6000, v44
	v_addc_co_u32_e32 v2, vcc, 0, v43, vcc
	global_store_dwordx2 v[1:2], v[47:48], off
	global_store_dwordx2 v[1:2], v[49:50], off offset:2048
	v_add_co_u32_e32 v1, vcc, 0x7000, v44
	s_waitcnt lgkmcnt(0)
	v_ashrrev_i32_e32 v20, 31, v19
	v_addc_co_u32_e32 v2, vcc, 0, v43, vcc
	global_store_dwordx2 v[1:2], v[19:20], off
	s_mov_b64 s[2:3], 0
.LBB13_71:
	s_andn2_b64 vcc, exec, s[2:3]
	s_cbranch_vccnz .LBB13_157
; %bb.72:
	ds_write2_b32 v32, v3, v4 offset1:1
	ds_write2_b32 v32, v5, v6 offset0:2 offset1:3
	ds_write2_b32 v32, v7, v8 offset0:4 offset1:5
	;; [unrolled: 1-line block ×6, first 2 shown]
	ds_write_b32 v32, v17 offset:56
	s_waitcnt vmcnt(0) lgkmcnt(0)
	s_barrier
	ds_read2st64_b32 v[2:3], v31 offset1:4
	ds_read2st64_b32 v[6:7], v31 offset0:8 offset1:12
	ds_read2st64_b32 v[8:9], v31 offset0:16 offset1:20
	;; [unrolled: 1-line block ×6, first 2 shown]
	ds_read_b32 v16, v31 offset:14336
	v_mov_b32_e32 v17, s1
	v_add_co_u32_e32 v18, vcc, s0, v18
	v_addc_co_u32_e32 v19, vcc, 0, v17, vcc
	v_mov_b32_e32 v1, 0
	v_cmp_gt_u32_e32 vcc, s23, v0
	s_and_saveexec_b64 s[0:1], vcc
	s_cbranch_execz .LBB13_74
; %bb.73:
	s_waitcnt lgkmcnt(7)
	v_ashrrev_i32_e32 v21, 31, v2
	v_mov_b32_e32 v20, v2
	global_store_dwordx2 v[18:19], v[20:21], off
.LBB13_74:
	s_or_b64 exec, exec, s[0:1]
	v_or_b32_e32 v17, 0x100, v0
	v_cmp_gt_u32_e32 vcc, s23, v17
	s_and_saveexec_b64 s[0:1], vcc
	s_cbranch_execz .LBB13_76
; %bb.75:
	s_waitcnt lgkmcnt(7)
	v_ashrrev_i32_e32 v21, 31, v3
	v_mov_b32_e32 v20, v3
	global_store_dwordx2 v[18:19], v[20:21], off offset:2048
.LBB13_76:
	s_or_b64 exec, exec, s[0:1]
	v_or_b32_e32 v17, 0x200, v0
	v_cmp_gt_u32_e32 vcc, s23, v17
	s_and_saveexec_b64 s[0:1], vcc
	s_cbranch_execz .LBB13_78
; %bb.77:
	v_add_co_u32_e32 v22, vcc, 0x1000, v18
	s_waitcnt lgkmcnt(6)
	v_ashrrev_i32_e32 v21, 31, v6
	v_mov_b32_e32 v20, v6
	v_addc_co_u32_e32 v23, vcc, 0, v19, vcc
	global_store_dwordx2 v[22:23], v[20:21], off
.LBB13_78:
	s_or_b64 exec, exec, s[0:1]
	v_or_b32_e32 v17, 0x300, v0
	v_cmp_gt_u32_e32 vcc, s23, v17
	s_and_saveexec_b64 s[0:1], vcc
	s_cbranch_execz .LBB13_80
; %bb.79:
	v_add_co_u32_e32 v22, vcc, 0x1000, v18
	s_waitcnt lgkmcnt(6)
	v_ashrrev_i32_e32 v21, 31, v7
	v_mov_b32_e32 v20, v7
	v_addc_co_u32_e32 v23, vcc, 0, v19, vcc
	global_store_dwordx2 v[22:23], v[20:21], off offset:2048
.LBB13_80:
	s_or_b64 exec, exec, s[0:1]
	v_or_b32_e32 v17, 0x400, v0
	v_cmp_gt_u32_e32 vcc, s23, v17
	s_and_saveexec_b64 s[0:1], vcc
	s_cbranch_execz .LBB13_82
; %bb.81:
	v_add_co_u32_e32 v22, vcc, 0x2000, v18
	s_waitcnt lgkmcnt(5)
	v_ashrrev_i32_e32 v21, 31, v8
	v_mov_b32_e32 v20, v8
	v_addc_co_u32_e32 v23, vcc, 0, v19, vcc
	global_store_dwordx2 v[22:23], v[20:21], off
.LBB13_82:
	s_or_b64 exec, exec, s[0:1]
	v_or_b32_e32 v17, 0x500, v0
	v_cmp_gt_u32_e32 vcc, s23, v17
	s_and_saveexec_b64 s[0:1], vcc
	s_cbranch_execz .LBB13_84
; %bb.83:
	v_add_co_u32_e32 v22, vcc, 0x2000, v18
	s_waitcnt lgkmcnt(5)
	v_ashrrev_i32_e32 v21, 31, v9
	v_mov_b32_e32 v20, v9
	v_addc_co_u32_e32 v23, vcc, 0, v19, vcc
	global_store_dwordx2 v[22:23], v[20:21], off offset:2048
.LBB13_84:
	;; [unrolled: 26-line block ×6, first 2 shown]
	s_or_b64 exec, exec, s[0:1]
	v_or_b32_e32 v17, 0xe00, v0
	v_cmp_gt_u32_e32 vcc, s23, v17
	s_and_saveexec_b64 s[0:1], vcc
	s_cbranch_execz .LBB13_102
; %bb.101:
	v_add_co_u32_e32 v18, vcc, 0x7000, v18
	s_waitcnt lgkmcnt(0)
	v_ashrrev_i32_e32 v17, 31, v16
	v_addc_co_u32_e32 v19, vcc, 0, v19, vcc
	global_store_dwordx2 v[18:19], v[16:17], off
.LBB13_102:
	s_or_b64 exec, exec, s[0:1]
	s_load_dword s0, s[4:5], 0x40
	s_waitcnt lgkmcnt(0)
	s_bfe_u32 s0, s0, 0x10008
	s_cmp_eq_u32 s0, 0
	s_cbranch_scc1 .LBB13_157
; %bb.103:
	s_add_u32 s0, s23, -1
	s_addc_u32 s1, s33, -1
	s_mul_i32 s5, s1, 0x88888889
	s_mul_hi_u32 s6, s0, 0x88888889
	s_mul_hi_u32 s4, s1, 0x88888889
	s_add_u32 s5, s5, s6
	s_mul_i32 s3, s0, 0x88888888
	s_addc_u32 s4, s4, 0
	s_mul_hi_u32 s2, s0, 0x88888888
	s_add_u32 s3, s3, s5
	s_addc_u32 s2, s2, 0
	s_add_u32 s2, s4, s2
	s_addc_u32 s3, 0, 0
	s_mul_i32 s5, s1, 0x88888888
	s_mul_hi_u32 s4, s1, 0x88888888
	s_add_u32 s2, s5, s2
	s_addc_u32 s3, s4, s3
	s_lshr_b64 s[2:3], s[2:3], 3
	v_cmp_eq_u64_e32 vcc, s[2:3], v[0:1]
	s_and_saveexec_b64 s[2:3], vcc
	s_cbranch_execz .LBB13_157
; %bb.104:
	v_mul_hi_u32_u24_e32 v1, 15, v0
	v_mul_u32_u24_e32 v0, 15, v0
	v_mov_b32_e32 v17, s1
	v_sub_co_u32_e32 v0, vcc, s0, v0
	v_subb_co_u32_e32 v1, vcc, v17, v1, vcc
	v_cmp_lt_i64_e32 vcc, 7, v[0:1]
	s_and_saveexec_b64 s[0:1], vcc
	s_xor_b64 s[0:1], exec, s[0:1]
	s_cbranch_execz .LBB13_130
; %bb.105:
	v_cmp_lt_i64_e32 vcc, 10, v[0:1]
	s_and_saveexec_b64 s[2:3], vcc
	s_xor_b64 s[2:3], exec, s[2:3]
	s_cbranch_execz .LBB13_119
; %bb.106:
	;; [unrolled: 5-line block ×4, first 2 shown]
	v_mov_b32_e32 v0, 0
	global_store_dword v0, v16, s[10:11]
                                        ; implicit-def: $vgpr14_vgpr15
.LBB13_109:
	s_andn2_saveexec_b64 s[6:7], s[6:7]
	s_cbranch_execz .LBB13_111
; %bb.110:
	v_mov_b32_e32 v0, 0
	global_store_dword v0, v15, s[10:11]
.LBB13_111:
	s_or_b64 exec, exec, s[6:7]
                                        ; implicit-def: $vgpr4_vgpr5
                                        ; implicit-def: $vgpr0_vgpr1
                                        ; implicit-def: $vgpr14_vgpr15
.LBB13_112:
	s_andn2_saveexec_b64 s[4:5], s[4:5]
	s_cbranch_execz .LBB13_118
; %bb.113:
	v_cmp_lt_i64_e32 vcc, 11, v[0:1]
	s_and_saveexec_b64 s[6:7], vcc
	s_xor_b64 s[6:7], exec, s[6:7]
	s_cbranch_execz .LBB13_115
; %bb.114:
	v_mov_b32_e32 v0, 0
	global_store_dword v0, v14, s[10:11]
                                        ; implicit-def: $vgpr4_vgpr5
.LBB13_115:
	s_andn2_saveexec_b64 s[6:7], s[6:7]
	s_cbranch_execz .LBB13_117
; %bb.116:
	v_mov_b32_e32 v0, 0
	global_store_dword v0, v5, s[10:11]
.LBB13_117:
	s_or_b64 exec, exec, s[6:7]
.LBB13_118:
	s_or_b64 exec, exec, s[4:5]
                                        ; implicit-def: $vgpr10_vgpr11
                                        ; implicit-def: $vgpr0_vgpr1
                                        ; implicit-def: $vgpr4_vgpr5
.LBB13_119:
	s_andn2_saveexec_b64 s[2:3], s[2:3]
	s_cbranch_execz .LBB13_129
; %bb.120:
	v_cmp_lt_i64_e32 vcc, 8, v[0:1]
	s_and_saveexec_b64 s[4:5], vcc
	s_xor_b64 s[4:5], exec, s[4:5]
	s_cbranch_execz .LBB13_126
; %bb.121:
	v_cmp_lt_i64_e32 vcc, 9, v[0:1]
	s_and_saveexec_b64 s[6:7], vcc
	s_xor_b64 s[6:7], exec, s[6:7]
	s_cbranch_execz .LBB13_123
; %bb.122:
	v_mov_b32_e32 v0, 0
	global_store_dword v0, v4, s[10:11]
                                        ; implicit-def: $vgpr10_vgpr11
.LBB13_123:
	s_andn2_saveexec_b64 s[6:7], s[6:7]
	s_cbranch_execz .LBB13_125
; %bb.124:
	v_mov_b32_e32 v0, 0
	global_store_dword v0, v11, s[10:11]
.LBB13_125:
	s_or_b64 exec, exec, s[6:7]
                                        ; implicit-def: $vgpr10_vgpr11
.LBB13_126:
	s_andn2_saveexec_b64 s[4:5], s[4:5]
	s_cbranch_execz .LBB13_128
; %bb.127:
	v_mov_b32_e32 v0, 0
	global_store_dword v0, v10, s[10:11]
.LBB13_128:
	s_or_b64 exec, exec, s[4:5]
.LBB13_129:
	s_or_b64 exec, exec, s[2:3]
                                        ; implicit-def: $vgpr0_vgpr1
                                        ; implicit-def: $vgpr2_vgpr3
                                        ; implicit-def: $vgpr8_vgpr9
                                        ; implicit-def: $vgpr6_vgpr7
                                        ; implicit-def: $vgpr12_vgpr13
.LBB13_130:
	s_andn2_saveexec_b64 s[0:1], s[0:1]
	s_cbranch_execz .LBB13_157
; %bb.131:
	v_cmp_lt_i64_e32 vcc, 3, v[0:1]
	s_and_saveexec_b64 s[0:1], vcc
	s_xor_b64 s[0:1], exec, s[0:1]
	s_cbranch_execz .LBB13_145
; %bb.132:
	v_cmp_lt_i64_e32 vcc, 5, v[0:1]
	s_and_saveexec_b64 s[2:3], vcc
	s_xor_b64 s[2:3], exec, s[2:3]
	;; [unrolled: 5-line block ×3, first 2 shown]
	s_cbranch_execz .LBB13_135
; %bb.134:
	v_mov_b32_e32 v0, 0
	global_store_dword v0, v13, s[10:11]
                                        ; implicit-def: $vgpr12_vgpr13
.LBB13_135:
	s_andn2_saveexec_b64 s[4:5], s[4:5]
	s_cbranch_execz .LBB13_137
; %bb.136:
	v_mov_b32_e32 v0, 0
	global_store_dword v0, v12, s[10:11]
.LBB13_137:
	s_or_b64 exec, exec, s[4:5]
                                        ; implicit-def: $vgpr8_vgpr9
                                        ; implicit-def: $vgpr0_vgpr1
.LBB13_138:
	s_andn2_saveexec_b64 s[2:3], s[2:3]
	s_cbranch_execz .LBB13_144
; %bb.139:
	v_cmp_lt_i64_e32 vcc, 4, v[0:1]
	s_and_saveexec_b64 s[4:5], vcc
	s_xor_b64 s[4:5], exec, s[4:5]
	s_cbranch_execz .LBB13_141
; %bb.140:
	v_mov_b32_e32 v0, 0
	global_store_dword v0, v9, s[10:11]
                                        ; implicit-def: $vgpr8_vgpr9
.LBB13_141:
	s_andn2_saveexec_b64 s[4:5], s[4:5]
	s_cbranch_execz .LBB13_143
; %bb.142:
	v_mov_b32_e32 v0, 0
	global_store_dword v0, v8, s[10:11]
.LBB13_143:
	s_or_b64 exec, exec, s[4:5]
.LBB13_144:
	s_or_b64 exec, exec, s[2:3]
                                        ; implicit-def: $vgpr0_vgpr1
                                        ; implicit-def: $vgpr2_vgpr3
                                        ; implicit-def: $vgpr6_vgpr7
.LBB13_145:
	s_andn2_saveexec_b64 s[0:1], s[0:1]
	s_cbranch_execz .LBB13_157
; %bb.146:
	v_cmp_lt_i64_e32 vcc, 1, v[0:1]
	s_and_saveexec_b64 s[0:1], vcc
	s_xor_b64 s[0:1], exec, s[0:1]
	s_cbranch_execz .LBB13_152
; %bb.147:
	v_cmp_lt_i64_e32 vcc, 2, v[0:1]
	s_and_saveexec_b64 s[2:3], vcc
	s_xor_b64 s[2:3], exec, s[2:3]
	s_cbranch_execz .LBB13_149
; %bb.148:
	v_mov_b32_e32 v0, 0
	global_store_dword v0, v7, s[10:11]
                                        ; implicit-def: $vgpr6_vgpr7
.LBB13_149:
	s_andn2_saveexec_b64 s[2:3], s[2:3]
	s_cbranch_execz .LBB13_151
; %bb.150:
	v_mov_b32_e32 v0, 0
	global_store_dword v0, v6, s[10:11]
.LBB13_151:
	s_or_b64 exec, exec, s[2:3]
                                        ; implicit-def: $vgpr2_vgpr3
                                        ; implicit-def: $vgpr0_vgpr1
.LBB13_152:
	s_andn2_saveexec_b64 s[0:1], s[0:1]
	s_cbranch_execz .LBB13_157
; %bb.153:
	v_cmp_ne_u64_e32 vcc, 1, v[0:1]
	s_and_saveexec_b64 s[0:1], vcc
	s_xor_b64 s[0:1], exec, s[0:1]
	s_cbranch_execz .LBB13_155
; %bb.154:
	v_mov_b32_e32 v0, 0
	global_store_dword v0, v2, s[10:11]
                                        ; implicit-def: $vgpr2_vgpr3
.LBB13_155:
	s_andn2_saveexec_b64 s[0:1], s[0:1]
	s_cbranch_execz .LBB13_157
; %bb.156:
	v_mov_b32_e32 v0, 0
	global_store_dword v0, v3, s[10:11]
.LBB13_157:
	s_endpgm
	.section	.rodata,"a",@progbits
	.p2align	6, 0x0
	.amdhsa_kernel _ZN7rocprim17ROCPRIM_304000_NS6detail20lookback_scan_kernelILNS1_25lookback_scan_determinismE0ELb0ENS1_19wrapped_scan_configINS0_14default_configEiEEPKiPlSt4plusIvEiiNS1_19lookback_scan_stateIiLb0ELb1EEEEEvT2_T3_mT5_T4_T7_jPT6_SK_bb
		.amdhsa_group_segment_fixed_size 15360
		.amdhsa_private_segment_fixed_size 0
		.amdhsa_kernarg_size 68
		.amdhsa_user_sgpr_count 6
		.amdhsa_user_sgpr_private_segment_buffer 1
		.amdhsa_user_sgpr_dispatch_ptr 0
		.amdhsa_user_sgpr_queue_ptr 0
		.amdhsa_user_sgpr_kernarg_segment_ptr 1
		.amdhsa_user_sgpr_dispatch_id 0
		.amdhsa_user_sgpr_flat_scratch_init 0
		.amdhsa_user_sgpr_private_segment_size 0
		.amdhsa_uses_dynamic_stack 0
		.amdhsa_system_sgpr_private_segment_wavefront_offset 0
		.amdhsa_system_sgpr_workgroup_id_x 1
		.amdhsa_system_sgpr_workgroup_id_y 0
		.amdhsa_system_sgpr_workgroup_id_z 0
		.amdhsa_system_sgpr_workgroup_info 0
		.amdhsa_system_vgpr_workitem_id 0
		.amdhsa_next_free_vgpr 51
		.amdhsa_next_free_sgpr 98
		.amdhsa_reserve_vcc 1
		.amdhsa_reserve_flat_scratch 0
		.amdhsa_float_round_mode_32 0
		.amdhsa_float_round_mode_16_64 0
		.amdhsa_float_denorm_mode_32 3
		.amdhsa_float_denorm_mode_16_64 3
		.amdhsa_dx10_clamp 1
		.amdhsa_ieee_mode 1
		.amdhsa_fp16_overflow 0
		.amdhsa_exception_fp_ieee_invalid_op 0
		.amdhsa_exception_fp_denorm_src 0
		.amdhsa_exception_fp_ieee_div_zero 0
		.amdhsa_exception_fp_ieee_overflow 0
		.amdhsa_exception_fp_ieee_underflow 0
		.amdhsa_exception_fp_ieee_inexact 0
		.amdhsa_exception_int_div_zero 0
	.end_amdhsa_kernel
	.section	.text._ZN7rocprim17ROCPRIM_304000_NS6detail20lookback_scan_kernelILNS1_25lookback_scan_determinismE0ELb0ENS1_19wrapped_scan_configINS0_14default_configEiEEPKiPlSt4plusIvEiiNS1_19lookback_scan_stateIiLb0ELb1EEEEEvT2_T3_mT5_T4_T7_jPT6_SK_bb,"axG",@progbits,_ZN7rocprim17ROCPRIM_304000_NS6detail20lookback_scan_kernelILNS1_25lookback_scan_determinismE0ELb0ENS1_19wrapped_scan_configINS0_14default_configEiEEPKiPlSt4plusIvEiiNS1_19lookback_scan_stateIiLb0ELb1EEEEEvT2_T3_mT5_T4_T7_jPT6_SK_bb,comdat
.Lfunc_end13:
	.size	_ZN7rocprim17ROCPRIM_304000_NS6detail20lookback_scan_kernelILNS1_25lookback_scan_determinismE0ELb0ENS1_19wrapped_scan_configINS0_14default_configEiEEPKiPlSt4plusIvEiiNS1_19lookback_scan_stateIiLb0ELb1EEEEEvT2_T3_mT5_T4_T7_jPT6_SK_bb, .Lfunc_end13-_ZN7rocprim17ROCPRIM_304000_NS6detail20lookback_scan_kernelILNS1_25lookback_scan_determinismE0ELb0ENS1_19wrapped_scan_configINS0_14default_configEiEEPKiPlSt4plusIvEiiNS1_19lookback_scan_stateIiLb0ELb1EEEEEvT2_T3_mT5_T4_T7_jPT6_SK_bb
                                        ; -- End function
	.set _ZN7rocprim17ROCPRIM_304000_NS6detail20lookback_scan_kernelILNS1_25lookback_scan_determinismE0ELb0ENS1_19wrapped_scan_configINS0_14default_configEiEEPKiPlSt4plusIvEiiNS1_19lookback_scan_stateIiLb0ELb1EEEEEvT2_T3_mT5_T4_T7_jPT6_SK_bb.num_vgpr, 51
	.set _ZN7rocprim17ROCPRIM_304000_NS6detail20lookback_scan_kernelILNS1_25lookback_scan_determinismE0ELb0ENS1_19wrapped_scan_configINS0_14default_configEiEEPKiPlSt4plusIvEiiNS1_19lookback_scan_stateIiLb0ELb1EEEEEvT2_T3_mT5_T4_T7_jPT6_SK_bb.num_agpr, 0
	.set _ZN7rocprim17ROCPRIM_304000_NS6detail20lookback_scan_kernelILNS1_25lookback_scan_determinismE0ELb0ENS1_19wrapped_scan_configINS0_14default_configEiEEPKiPlSt4plusIvEiiNS1_19lookback_scan_stateIiLb0ELb1EEEEEvT2_T3_mT5_T4_T7_jPT6_SK_bb.numbered_sgpr, 34
	.set _ZN7rocprim17ROCPRIM_304000_NS6detail20lookback_scan_kernelILNS1_25lookback_scan_determinismE0ELb0ENS1_19wrapped_scan_configINS0_14default_configEiEEPKiPlSt4plusIvEiiNS1_19lookback_scan_stateIiLb0ELb1EEEEEvT2_T3_mT5_T4_T7_jPT6_SK_bb.num_named_barrier, 0
	.set _ZN7rocprim17ROCPRIM_304000_NS6detail20lookback_scan_kernelILNS1_25lookback_scan_determinismE0ELb0ENS1_19wrapped_scan_configINS0_14default_configEiEEPKiPlSt4plusIvEiiNS1_19lookback_scan_stateIiLb0ELb1EEEEEvT2_T3_mT5_T4_T7_jPT6_SK_bb.private_seg_size, 0
	.set _ZN7rocprim17ROCPRIM_304000_NS6detail20lookback_scan_kernelILNS1_25lookback_scan_determinismE0ELb0ENS1_19wrapped_scan_configINS0_14default_configEiEEPKiPlSt4plusIvEiiNS1_19lookback_scan_stateIiLb0ELb1EEEEEvT2_T3_mT5_T4_T7_jPT6_SK_bb.uses_vcc, 1
	.set _ZN7rocprim17ROCPRIM_304000_NS6detail20lookback_scan_kernelILNS1_25lookback_scan_determinismE0ELb0ENS1_19wrapped_scan_configINS0_14default_configEiEEPKiPlSt4plusIvEiiNS1_19lookback_scan_stateIiLb0ELb1EEEEEvT2_T3_mT5_T4_T7_jPT6_SK_bb.uses_flat_scratch, 0
	.set _ZN7rocprim17ROCPRIM_304000_NS6detail20lookback_scan_kernelILNS1_25lookback_scan_determinismE0ELb0ENS1_19wrapped_scan_configINS0_14default_configEiEEPKiPlSt4plusIvEiiNS1_19lookback_scan_stateIiLb0ELb1EEEEEvT2_T3_mT5_T4_T7_jPT6_SK_bb.has_dyn_sized_stack, 0
	.set _ZN7rocprim17ROCPRIM_304000_NS6detail20lookback_scan_kernelILNS1_25lookback_scan_determinismE0ELb0ENS1_19wrapped_scan_configINS0_14default_configEiEEPKiPlSt4plusIvEiiNS1_19lookback_scan_stateIiLb0ELb1EEEEEvT2_T3_mT5_T4_T7_jPT6_SK_bb.has_recursion, 0
	.set _ZN7rocprim17ROCPRIM_304000_NS6detail20lookback_scan_kernelILNS1_25lookback_scan_determinismE0ELb0ENS1_19wrapped_scan_configINS0_14default_configEiEEPKiPlSt4plusIvEiiNS1_19lookback_scan_stateIiLb0ELb1EEEEEvT2_T3_mT5_T4_T7_jPT6_SK_bb.has_indirect_call, 0
	.section	.AMDGPU.csdata,"",@progbits
; Kernel info:
; codeLenInByte = 5876
; TotalNumSgprs: 38
; NumVgprs: 51
; ScratchSize: 0
; MemoryBound: 0
; FloatMode: 240
; IeeeMode: 1
; LDSByteSize: 15360 bytes/workgroup (compile time only)
; SGPRBlocks: 12
; VGPRBlocks: 12
; NumSGPRsForWavesPerEU: 102
; NumVGPRsForWavesPerEU: 51
; Occupancy: 4
; WaveLimiterHint : 1
; COMPUTE_PGM_RSRC2:SCRATCH_EN: 0
; COMPUTE_PGM_RSRC2:USER_SGPR: 6
; COMPUTE_PGM_RSRC2:TRAP_HANDLER: 0
; COMPUTE_PGM_RSRC2:TGID_X_EN: 1
; COMPUTE_PGM_RSRC2:TGID_Y_EN: 0
; COMPUTE_PGM_RSRC2:TGID_Z_EN: 0
; COMPUTE_PGM_RSRC2:TIDIG_COMP_CNT: 0
	.section	.text._ZN7rocprim17ROCPRIM_304000_NS6detail18single_scan_kernelILb0ENS1_19wrapped_scan_configINS0_14default_configEiEEPKiPlSt4plusIvEiiEEvT1_mT4_T2_T3_,"axG",@progbits,_ZN7rocprim17ROCPRIM_304000_NS6detail18single_scan_kernelILb0ENS1_19wrapped_scan_configINS0_14default_configEiEEPKiPlSt4plusIvEiiEEvT1_mT4_T2_T3_,comdat
	.protected	_ZN7rocprim17ROCPRIM_304000_NS6detail18single_scan_kernelILb0ENS1_19wrapped_scan_configINS0_14default_configEiEEPKiPlSt4plusIvEiiEEvT1_mT4_T2_T3_ ; -- Begin function _ZN7rocprim17ROCPRIM_304000_NS6detail18single_scan_kernelILb0ENS1_19wrapped_scan_configINS0_14default_configEiEEPKiPlSt4plusIvEiiEEvT1_mT4_T2_T3_
	.globl	_ZN7rocprim17ROCPRIM_304000_NS6detail18single_scan_kernelILb0ENS1_19wrapped_scan_configINS0_14default_configEiEEPKiPlSt4plusIvEiiEEvT1_mT4_T2_T3_
	.p2align	8
	.type	_ZN7rocprim17ROCPRIM_304000_NS6detail18single_scan_kernelILb0ENS1_19wrapped_scan_configINS0_14default_configEiEEPKiPlSt4plusIvEiiEEvT1_mT4_T2_T3_,@function
_ZN7rocprim17ROCPRIM_304000_NS6detail18single_scan_kernelILb0ENS1_19wrapped_scan_configINS0_14default_configEiEEPKiPlSt4plusIvEiiEEvT1_mT4_T2_T3_: ; @_ZN7rocprim17ROCPRIM_304000_NS6detail18single_scan_kernelILb0ENS1_19wrapped_scan_configINS0_14default_configEiEEPKiPlSt4plusIvEiiEEvT1_mT4_T2_T3_
; %bb.0:
	s_load_dwordx4 s[28:31], s[4:5], 0x0
	v_lshlrev_b32_e32 v19, 2, v0
	s_waitcnt lgkmcnt(0)
	s_load_dword s8, s[28:29], 0x0
	v_mov_b32_e32 v1, s29
	v_add_co_u32_e32 v17, vcc, s28, v19
	v_addc_co_u32_e32 v18, vcc, 0, v1, vcc
	s_waitcnt lgkmcnt(0)
	s_mov_b32 s9, s8
	s_mov_b32 s10, s8
	;; [unrolled: 1-line block ×14, first 2 shown]
	v_mov_b32_e32 v1, s8
	v_cmp_gt_u32_e64 s[0:1], s30, v0
	v_mov_b32_e32 v2, s9
	v_mov_b32_e32 v3, s10
	;; [unrolled: 1-line block ×15, first 2 shown]
	s_and_saveexec_b64 s[2:3], s[0:1]
	s_cbranch_execz .LBB14_2
; %bb.1:
	global_load_dword v1, v[17:18], off
	v_mov_b32_e32 v2, s8
	v_mov_b32_e32 v3, s8
	;; [unrolled: 1-line block ×14, first 2 shown]
.LBB14_2:
	s_or_b64 exec, exec, s[2:3]
	v_or_b32_e32 v16, 0x100, v0
	v_cmp_gt_u32_e64 s[2:3], s30, v16
	s_and_saveexec_b64 s[6:7], s[2:3]
	s_cbranch_execz .LBB14_4
; %bb.3:
	global_load_dword v2, v[17:18], off offset:1024
.LBB14_4:
	s_or_b64 exec, exec, s[6:7]
	v_or_b32_e32 v16, 0x200, v0
	v_cmp_gt_u32_e64 s[6:7], s30, v16
	s_and_saveexec_b64 s[8:9], s[6:7]
	s_cbranch_execz .LBB14_6
; %bb.5:
	global_load_dword v3, v[17:18], off offset:2048
.LBB14_6:
	;; [unrolled: 8-line block ×3, first 2 shown]
	s_or_b64 exec, exec, s[10:11]
	v_or_b32_e32 v16, 0x400, v0
	v_cmp_gt_u32_e64 s[10:11], s30, v16
	s_and_saveexec_b64 s[12:13], s[10:11]
	s_cbranch_execz .LBB14_10
; %bb.9:
	v_add_co_u32_e32 v20, vcc, 0x1000, v17
	v_addc_co_u32_e32 v21, vcc, 0, v18, vcc
	global_load_dword v5, v[20:21], off
.LBB14_10:
	s_or_b64 exec, exec, s[12:13]
	v_or_b32_e32 v16, 0x500, v0
	v_cmp_gt_u32_e64 s[12:13], s30, v16
	s_and_saveexec_b64 s[14:15], s[12:13]
	s_cbranch_execz .LBB14_12
; %bb.11:
	v_add_co_u32_e32 v20, vcc, 0x1000, v17
	v_addc_co_u32_e32 v21, vcc, 0, v18, vcc
	global_load_dword v6, v[20:21], off offset:1024
.LBB14_12:
	s_or_b64 exec, exec, s[14:15]
	v_or_b32_e32 v16, 0x600, v0
	v_cmp_gt_u32_e64 s[14:15], s30, v16
	s_and_saveexec_b64 s[16:17], s[14:15]
	s_cbranch_execz .LBB14_14
; %bb.13:
	v_add_co_u32_e32 v20, vcc, 0x1000, v17
	v_addc_co_u32_e32 v21, vcc, 0, v18, vcc
	global_load_dword v7, v[20:21], off offset:2048
.LBB14_14:
	;; [unrolled: 10-line block ×3, first 2 shown]
	s_or_b64 exec, exec, s[18:19]
	v_or_b32_e32 v16, 0x800, v0
	v_cmp_gt_u32_e64 s[18:19], s30, v16
	s_and_saveexec_b64 s[20:21], s[18:19]
	s_cbranch_execz .LBB14_18
; %bb.17:
	v_add_co_u32_e32 v20, vcc, 0x2000, v17
	v_addc_co_u32_e32 v21, vcc, 0, v18, vcc
	global_load_dword v9, v[20:21], off
.LBB14_18:
	s_or_b64 exec, exec, s[20:21]
	v_or_b32_e32 v16, 0x900, v0
	v_cmp_gt_u32_e64 s[20:21], s30, v16
	s_and_saveexec_b64 s[22:23], s[20:21]
	s_cbranch_execz .LBB14_20
; %bb.19:
	v_add_co_u32_e32 v20, vcc, 0x2000, v17
	v_addc_co_u32_e32 v21, vcc, 0, v18, vcc
	global_load_dword v10, v[20:21], off offset:1024
.LBB14_20:
	s_or_b64 exec, exec, s[22:23]
	v_or_b32_e32 v16, 0xa00, v0
	v_cmp_gt_u32_e64 s[22:23], s30, v16
	s_and_saveexec_b64 s[24:25], s[22:23]
	s_cbranch_execz .LBB14_22
; %bb.21:
	v_add_co_u32_e32 v20, vcc, 0x2000, v17
	v_addc_co_u32_e32 v21, vcc, 0, v18, vcc
	global_load_dword v11, v[20:21], off offset:2048
.LBB14_22:
	;; [unrolled: 10-line block ×3, first 2 shown]
	s_or_b64 exec, exec, s[26:27]
	v_or_b32_e32 v16, 0xc00, v0
	v_cmp_gt_u32_e64 s[26:27], s30, v16
	s_and_saveexec_b64 s[28:29], s[26:27]
	s_cbranch_execz .LBB14_26
; %bb.25:
	v_add_co_u32_e32 v20, vcc, 0x3000, v17
	v_addc_co_u32_e32 v21, vcc, 0, v18, vcc
	global_load_dword v13, v[20:21], off
.LBB14_26:
	s_or_b64 exec, exec, s[28:29]
	v_or_b32_e32 v16, 0xd00, v0
	v_cmp_gt_u32_e64 s[28:29], s30, v16
	s_and_saveexec_b64 s[34:35], s[28:29]
	s_cbranch_execz .LBB14_28
; %bb.27:
	v_add_co_u32_e32 v20, vcc, 0x3000, v17
	v_addc_co_u32_e32 v21, vcc, 0, v18, vcc
	global_load_dword v14, v[20:21], off offset:1024
.LBB14_28:
	s_or_b64 exec, exec, s[34:35]
	v_or_b32_e32 v16, 0xe00, v0
	v_cmp_gt_u32_e64 s[30:31], s30, v16
	s_and_saveexec_b64 s[34:35], s[30:31]
	s_cbranch_execz .LBB14_30
; %bb.29:
	v_add_co_u32_e32 v15, vcc, 0x3000, v17
	v_addc_co_u32_e32 v16, vcc, 0, v18, vcc
	global_load_dword v15, v[15:16], off offset:2048
.LBB14_30:
	s_or_b64 exec, exec, s[34:35]
	s_waitcnt vmcnt(0)
	ds_write2st64_b32 v19, v1, v2 offset1:4
	ds_write2st64_b32 v19, v3, v4 offset0:8 offset1:12
	ds_write2st64_b32 v19, v5, v6 offset0:16 offset1:20
	;; [unrolled: 1-line block ×6, first 2 shown]
	ds_write_b32 v19, v15 offset:14336
	v_mad_u32_u24 v15, v0, 56, v19
	s_waitcnt lgkmcnt(0)
	s_barrier
	ds_read2_b32 v[1:2], v15 offset1:1
	ds_read2_b32 v[13:14], v15 offset0:2 offset1:3
	ds_read2_b32 v[11:12], v15 offset0:4 offset1:5
	;; [unrolled: 1-line block ×6, first 2 shown]
	ds_read_b32 v30, v15 offset:56
	s_waitcnt lgkmcnt(7)
	v_add_u32_e32 v15, v2, v1
	s_waitcnt lgkmcnt(6)
	v_add_u32_e32 v16, v15, v13
	v_add_u32_e32 v17, v16, v14
	s_waitcnt lgkmcnt(5)
	v_add_u32_e32 v18, v17, v11
	;; [unrolled: 3-line block ×6, first 2 shown]
	v_lshrrev_b32_e32 v31, 3, v0
	v_add_u32_e32 v28, v27, v4
	v_and_b32_e32 v31, 28, v31
	s_waitcnt lgkmcnt(0)
	v_add_u32_e32 v29, v28, v30
	v_add_u32_e32 v31, v19, v31
	v_cmp_gt_u32_e32 vcc, 64, v0
	s_barrier
	ds_write_b32 v31, v29
	s_waitcnt lgkmcnt(0)
	s_barrier
	s_and_saveexec_b64 s[34:35], vcc
	s_cbranch_execz .LBB14_32
; %bb.31:
	v_lshrrev_b32_e32 v31, 1, v0
	v_and_b32_e32 v31, 0x7c, v31
	v_lshl_add_u32 v35, v0, 4, v31
	ds_read2_b32 v[31:32], v35 offset1:1
	ds_read2_b32 v[33:34], v35 offset0:2 offset1:3
	v_mbcnt_lo_u32_b32 v36, -1, 0
	v_mbcnt_hi_u32_b32 v36, -1, v36
	v_and_b32_e32 v37, 15, v36
	s_waitcnt lgkmcnt(1)
	v_add_u32_e32 v38, v32, v31
	s_waitcnt lgkmcnt(0)
	v_add3_u32 v38, v38, v33, v34
	v_cmp_ne_u32_e32 vcc, 0, v37
	s_nop 0
	v_mov_b32_dpp v39, v38 row_shr:1 row_mask:0xf bank_mask:0xf
	v_cndmask_b32_e32 v39, 0, v39, vcc
	v_add_u32_e32 v38, v39, v38
	v_cmp_lt_u32_e32 vcc, 1, v37
	s_nop 0
	v_mov_b32_dpp v39, v38 row_shr:2 row_mask:0xf bank_mask:0xf
	v_cndmask_b32_e32 v39, 0, v39, vcc
	v_add_u32_e32 v38, v38, v39
	v_cmp_lt_u32_e32 vcc, 3, v37
	;; [unrolled: 5-line block ×3, first 2 shown]
	s_nop 0
	v_mov_b32_dpp v39, v38 row_shr:8 row_mask:0xf bank_mask:0xf
	v_cndmask_b32_e32 v37, 0, v39, vcc
	v_add_u32_e32 v37, v38, v37
	v_bfe_i32 v39, v36, 4, 1
	v_cmp_lt_u32_e32 vcc, 31, v36
	v_mov_b32_dpp v38, v37 row_bcast:15 row_mask:0xf bank_mask:0xf
	v_and_b32_e32 v38, v39, v38
	v_add_u32_e32 v37, v37, v38
	v_and_b32_e32 v39, 64, v36
	s_nop 0
	v_mov_b32_dpp v38, v37 row_bcast:31 row_mask:0xf bank_mask:0xf
	v_cndmask_b32_e32 v38, 0, v38, vcc
	v_add_u32_e32 v37, v37, v38
	v_add_u32_e32 v38, -1, v36
	v_cmp_lt_i32_e32 vcc, v38, v39
	v_cndmask_b32_e32 v36, v38, v36, vcc
	v_lshlrev_b32_e32 v36, 2, v36
	ds_bpermute_b32 v36, v36, v37
	v_cmp_eq_u32_e32 vcc, 0, v0
	s_waitcnt lgkmcnt(0)
	v_add_u32_e32 v31, v36, v31
	v_cndmask_b32_e32 v31, v31, v29, vcc
	v_add_u32_e32 v32, v31, v32
	ds_write2_b32 v35, v31, v32 offset1:1
	v_add_u32_e32 v31, v32, v33
	v_add_u32_e32 v32, v31, v34
	ds_write2_b32 v35, v31, v32 offset0:2 offset1:3
.LBB14_32:
	s_or_b64 exec, exec, s[34:35]
	v_mul_u32_u24_e32 v31, 56, v0
	v_cmp_ne_u32_e32 vcc, 0, v0
	s_waitcnt lgkmcnt(0)
	s_barrier
	s_and_saveexec_b64 s[34:35], vcc
	s_cbranch_execz .LBB14_34
; %bb.33:
	v_add_u32_e32 v15, -1, v0
	v_lshrrev_b32_e32 v16, 3, v15
	v_and_b32_e32 v16, 0x1ffffffc, v16
	v_lshl_add_u32 v15, v15, 2, v16
	ds_read_b32 v15, v15
	s_waitcnt lgkmcnt(0)
	v_add_u32_e32 v1, v15, v1
	v_add_u32_e32 v15, v1, v2
	;; [unrolled: 1-line block ×15, first 2 shown]
.LBB14_34:
	s_or_b64 exec, exec, s[34:35]
	v_add_u32_e32 v2, v19, v31
	s_barrier
	ds_write2_b32 v2, v1, v15 offset1:1
	ds_write2_b32 v2, v16, v17 offset0:2 offset1:3
	ds_write2_b32 v2, v18, v20 offset0:4 offset1:5
	;; [unrolled: 1-line block ×6, first 2 shown]
	ds_write_b32 v2, v29 offset:56
	s_waitcnt lgkmcnt(0)
	s_barrier
	ds_read2st64_b32 v[15:16], v19 offset0:4 offset1:8
	ds_read2st64_b32 v[13:14], v19 offset0:12 offset1:16
	;; [unrolled: 1-line block ×7, first 2 shown]
	s_load_dwordx2 s[4:5], s[4:5], 0x18
	v_lshlrev_b32_e32 v0, 3, v0
	s_waitcnt lgkmcnt(0)
	v_mov_b32_e32 v4, s5
	v_add_co_u32_e32 v3, vcc, s4, v0
	v_addc_co_u32_e32 v4, vcc, 0, v4, vcc
	s_and_saveexec_b64 s[4:5], s[0:1]
	s_cbranch_execnz .LBB14_50
; %bb.35:
	s_or_b64 exec, exec, s[4:5]
	s_and_saveexec_b64 s[0:1], s[2:3]
	s_cbranch_execnz .LBB14_51
.LBB14_36:
	s_or_b64 exec, exec, s[0:1]
	s_and_saveexec_b64 s[0:1], s[6:7]
	s_cbranch_execnz .LBB14_52
.LBB14_37:
	s_or_b64 exec, exec, s[0:1]
	s_and_saveexec_b64 s[0:1], s[8:9]
	s_cbranch_execnz .LBB14_53
.LBB14_38:
	s_or_b64 exec, exec, s[0:1]
	s_and_saveexec_b64 s[0:1], s[10:11]
	s_cbranch_execnz .LBB14_54
.LBB14_39:
	s_or_b64 exec, exec, s[0:1]
	s_and_saveexec_b64 s[0:1], s[12:13]
	s_cbranch_execnz .LBB14_55
.LBB14_40:
	s_or_b64 exec, exec, s[0:1]
	s_and_saveexec_b64 s[0:1], s[14:15]
	s_cbranch_execnz .LBB14_56
.LBB14_41:
	s_or_b64 exec, exec, s[0:1]
	s_and_saveexec_b64 s[0:1], s[16:17]
	s_cbranch_execnz .LBB14_57
.LBB14_42:
	s_or_b64 exec, exec, s[0:1]
	s_and_saveexec_b64 s[0:1], s[18:19]
	s_cbranch_execnz .LBB14_58
.LBB14_43:
	s_or_b64 exec, exec, s[0:1]
	s_and_saveexec_b64 s[0:1], s[20:21]
	s_cbranch_execnz .LBB14_59
.LBB14_44:
	s_or_b64 exec, exec, s[0:1]
	s_and_saveexec_b64 s[0:1], s[22:23]
	s_cbranch_execnz .LBB14_60
.LBB14_45:
	s_or_b64 exec, exec, s[0:1]
	s_and_saveexec_b64 s[0:1], s[24:25]
	s_cbranch_execnz .LBB14_61
.LBB14_46:
	s_or_b64 exec, exec, s[0:1]
	s_and_saveexec_b64 s[0:1], s[26:27]
	s_cbranch_execnz .LBB14_62
.LBB14_47:
	s_or_b64 exec, exec, s[0:1]
	s_and_saveexec_b64 s[0:1], s[28:29]
	s_cbranch_execnz .LBB14_63
.LBB14_48:
	s_or_b64 exec, exec, s[0:1]
	s_and_saveexec_b64 s[0:1], s[30:31]
	s_cbranch_execnz .LBB14_64
.LBB14_49:
	s_endpgm
.LBB14_50:
	ds_read_b32 v17, v19
	s_waitcnt lgkmcnt(0)
	v_ashrrev_i32_e32 v18, 31, v17
	global_store_dwordx2 v[3:4], v[17:18], off
	s_or_b64 exec, exec, s[4:5]
	s_and_saveexec_b64 s[0:1], s[2:3]
	s_cbranch_execz .LBB14_36
.LBB14_51:
	v_ashrrev_i32_e32 v18, 31, v15
	v_mov_b32_e32 v17, v15
	global_store_dwordx2 v[3:4], v[17:18], off offset:2048
	s_or_b64 exec, exec, s[0:1]
	s_and_saveexec_b64 s[0:1], s[6:7]
	s_cbranch_execz .LBB14_37
.LBB14_52:
	v_add_co_u32_e32 v18, vcc, 0x1000, v3
	v_ashrrev_i32_e32 v17, 31, v16
	v_addc_co_u32_e32 v19, vcc, 0, v4, vcc
	global_store_dwordx2 v[18:19], v[16:17], off
	s_or_b64 exec, exec, s[0:1]
	s_and_saveexec_b64 s[0:1], s[8:9]
	s_cbranch_execz .LBB14_38
.LBB14_53:
	v_add_co_u32_e32 v17, vcc, 0x1000, v3
	v_ashrrev_i32_e32 v16, 31, v13
	v_mov_b32_e32 v15, v13
	v_addc_co_u32_e32 v18, vcc, 0, v4, vcc
	global_store_dwordx2 v[17:18], v[15:16], off offset:2048
	s_or_b64 exec, exec, s[0:1]
	s_and_saveexec_b64 s[0:1], s[10:11]
	s_cbranch_execz .LBB14_39
.LBB14_54:
	v_add_co_u32_e32 v16, vcc, 0x2000, v3
	v_ashrrev_i32_e32 v15, 31, v14
	v_addc_co_u32_e32 v17, vcc, 0, v4, vcc
	global_store_dwordx2 v[16:17], v[14:15], off
	s_or_b64 exec, exec, s[0:1]
	s_and_saveexec_b64 s[0:1], s[12:13]
	s_cbranch_execz .LBB14_40
.LBB14_55:
	v_add_co_u32_e32 v15, vcc, 0x2000, v3
	v_ashrrev_i32_e32 v14, 31, v11
	v_mov_b32_e32 v13, v11
	v_addc_co_u32_e32 v16, vcc, 0, v4, vcc
	global_store_dwordx2 v[15:16], v[13:14], off offset:2048
	s_or_b64 exec, exec, s[0:1]
	s_and_saveexec_b64 s[0:1], s[14:15]
	s_cbranch_execz .LBB14_41
.LBB14_56:
	v_add_co_u32_e32 v14, vcc, 0x3000, v3
	v_ashrrev_i32_e32 v13, 31, v12
	v_addc_co_u32_e32 v15, vcc, 0, v4, vcc
	global_store_dwordx2 v[14:15], v[12:13], off
	s_or_b64 exec, exec, s[0:1]
	s_and_saveexec_b64 s[0:1], s[16:17]
	s_cbranch_execz .LBB14_42
.LBB14_57:
	v_add_co_u32_e32 v13, vcc, 0x3000, v3
	v_ashrrev_i32_e32 v12, 31, v9
	v_mov_b32_e32 v11, v9
	v_addc_co_u32_e32 v14, vcc, 0, v4, vcc
	global_store_dwordx2 v[13:14], v[11:12], off offset:2048
	s_or_b64 exec, exec, s[0:1]
	s_and_saveexec_b64 s[0:1], s[18:19]
	s_cbranch_execz .LBB14_43
.LBB14_58:
	v_add_co_u32_e32 v12, vcc, 0x4000, v3
	v_ashrrev_i32_e32 v11, 31, v10
	v_addc_co_u32_e32 v13, vcc, 0, v4, vcc
	global_store_dwordx2 v[12:13], v[10:11], off
	s_or_b64 exec, exec, s[0:1]
	s_and_saveexec_b64 s[0:1], s[20:21]
	s_cbranch_execz .LBB14_44
.LBB14_59:
	v_add_co_u32_e32 v11, vcc, 0x4000, v3
	v_ashrrev_i32_e32 v10, 31, v7
	v_mov_b32_e32 v9, v7
	v_addc_co_u32_e32 v12, vcc, 0, v4, vcc
	global_store_dwordx2 v[11:12], v[9:10], off offset:2048
	s_or_b64 exec, exec, s[0:1]
	s_and_saveexec_b64 s[0:1], s[22:23]
	s_cbranch_execz .LBB14_45
.LBB14_60:
	v_add_co_u32_e32 v10, vcc, 0x5000, v3
	v_ashrrev_i32_e32 v9, 31, v8
	v_addc_co_u32_e32 v11, vcc, 0, v4, vcc
	global_store_dwordx2 v[10:11], v[8:9], off
	s_or_b64 exec, exec, s[0:1]
	s_and_saveexec_b64 s[0:1], s[24:25]
	s_cbranch_execz .LBB14_46
.LBB14_61:
	v_add_co_u32_e32 v9, vcc, 0x5000, v3
	v_ashrrev_i32_e32 v8, 31, v5
	v_mov_b32_e32 v7, v5
	v_addc_co_u32_e32 v10, vcc, 0, v4, vcc
	global_store_dwordx2 v[9:10], v[7:8], off offset:2048
	s_or_b64 exec, exec, s[0:1]
	s_and_saveexec_b64 s[0:1], s[26:27]
	s_cbranch_execz .LBB14_47
.LBB14_62:
	v_add_co_u32_e32 v8, vcc, 0x6000, v3
	v_ashrrev_i32_e32 v7, 31, v6
	v_addc_co_u32_e32 v9, vcc, 0, v4, vcc
	global_store_dwordx2 v[8:9], v[6:7], off
	s_or_b64 exec, exec, s[0:1]
	s_and_saveexec_b64 s[0:1], s[28:29]
	s_cbranch_execz .LBB14_48
.LBB14_63:
	v_add_co_u32_e32 v0, vcc, 0x6000, v3
	v_ashrrev_i32_e32 v6, 31, v1
	v_mov_b32_e32 v5, v1
	v_addc_co_u32_e32 v1, vcc, 0, v4, vcc
	global_store_dwordx2 v[0:1], v[5:6], off offset:2048
	s_or_b64 exec, exec, s[0:1]
	s_and_saveexec_b64 s[0:1], s[30:31]
	s_cbranch_execz .LBB14_49
.LBB14_64:
	v_ashrrev_i32_e32 v1, 31, v2
	v_mov_b32_e32 v0, v2
	v_add_co_u32_e32 v2, vcc, 0x7000, v3
	v_addc_co_u32_e32 v3, vcc, 0, v4, vcc
	global_store_dwordx2 v[2:3], v[0:1], off
	s_endpgm
	.section	.rodata,"a",@progbits
	.p2align	6, 0x0
	.amdhsa_kernel _ZN7rocprim17ROCPRIM_304000_NS6detail18single_scan_kernelILb0ENS1_19wrapped_scan_configINS0_14default_configEiEEPKiPlSt4plusIvEiiEEvT1_mT4_T2_T3_
		.amdhsa_group_segment_fixed_size 15360
		.amdhsa_private_segment_fixed_size 0
		.amdhsa_kernarg_size 36
		.amdhsa_user_sgpr_count 6
		.amdhsa_user_sgpr_private_segment_buffer 1
		.amdhsa_user_sgpr_dispatch_ptr 0
		.amdhsa_user_sgpr_queue_ptr 0
		.amdhsa_user_sgpr_kernarg_segment_ptr 1
		.amdhsa_user_sgpr_dispatch_id 0
		.amdhsa_user_sgpr_flat_scratch_init 0
		.amdhsa_user_sgpr_private_segment_size 0
		.amdhsa_uses_dynamic_stack 0
		.amdhsa_system_sgpr_private_segment_wavefront_offset 0
		.amdhsa_system_sgpr_workgroup_id_x 1
		.amdhsa_system_sgpr_workgroup_id_y 0
		.amdhsa_system_sgpr_workgroup_id_z 0
		.amdhsa_system_sgpr_workgroup_info 0
		.amdhsa_system_vgpr_workitem_id 0
		.amdhsa_next_free_vgpr 49
		.amdhsa_next_free_sgpr 98
		.amdhsa_reserve_vcc 1
		.amdhsa_reserve_flat_scratch 0
		.amdhsa_float_round_mode_32 0
		.amdhsa_float_round_mode_16_64 0
		.amdhsa_float_denorm_mode_32 3
		.amdhsa_float_denorm_mode_16_64 3
		.amdhsa_dx10_clamp 1
		.amdhsa_ieee_mode 1
		.amdhsa_fp16_overflow 0
		.amdhsa_exception_fp_ieee_invalid_op 0
		.amdhsa_exception_fp_denorm_src 0
		.amdhsa_exception_fp_ieee_div_zero 0
		.amdhsa_exception_fp_ieee_overflow 0
		.amdhsa_exception_fp_ieee_underflow 0
		.amdhsa_exception_fp_ieee_inexact 0
		.amdhsa_exception_int_div_zero 0
	.end_amdhsa_kernel
	.section	.text._ZN7rocprim17ROCPRIM_304000_NS6detail18single_scan_kernelILb0ENS1_19wrapped_scan_configINS0_14default_configEiEEPKiPlSt4plusIvEiiEEvT1_mT4_T2_T3_,"axG",@progbits,_ZN7rocprim17ROCPRIM_304000_NS6detail18single_scan_kernelILb0ENS1_19wrapped_scan_configINS0_14default_configEiEEPKiPlSt4plusIvEiiEEvT1_mT4_T2_T3_,comdat
.Lfunc_end14:
	.size	_ZN7rocprim17ROCPRIM_304000_NS6detail18single_scan_kernelILb0ENS1_19wrapped_scan_configINS0_14default_configEiEEPKiPlSt4plusIvEiiEEvT1_mT4_T2_T3_, .Lfunc_end14-_ZN7rocprim17ROCPRIM_304000_NS6detail18single_scan_kernelILb0ENS1_19wrapped_scan_configINS0_14default_configEiEEPKiPlSt4plusIvEiiEEvT1_mT4_T2_T3_
                                        ; -- End function
	.set _ZN7rocprim17ROCPRIM_304000_NS6detail18single_scan_kernelILb0ENS1_19wrapped_scan_configINS0_14default_configEiEEPKiPlSt4plusIvEiiEEvT1_mT4_T2_T3_.num_vgpr, 40
	.set _ZN7rocprim17ROCPRIM_304000_NS6detail18single_scan_kernelILb0ENS1_19wrapped_scan_configINS0_14default_configEiEEPKiPlSt4plusIvEiiEEvT1_mT4_T2_T3_.num_agpr, 0
	.set _ZN7rocprim17ROCPRIM_304000_NS6detail18single_scan_kernelILb0ENS1_19wrapped_scan_configINS0_14default_configEiEEPKiPlSt4plusIvEiiEEvT1_mT4_T2_T3_.numbered_sgpr, 36
	.set _ZN7rocprim17ROCPRIM_304000_NS6detail18single_scan_kernelILb0ENS1_19wrapped_scan_configINS0_14default_configEiEEPKiPlSt4plusIvEiiEEvT1_mT4_T2_T3_.num_named_barrier, 0
	.set _ZN7rocprim17ROCPRIM_304000_NS6detail18single_scan_kernelILb0ENS1_19wrapped_scan_configINS0_14default_configEiEEPKiPlSt4plusIvEiiEEvT1_mT4_T2_T3_.private_seg_size, 0
	.set _ZN7rocprim17ROCPRIM_304000_NS6detail18single_scan_kernelILb0ENS1_19wrapped_scan_configINS0_14default_configEiEEPKiPlSt4plusIvEiiEEvT1_mT4_T2_T3_.uses_vcc, 1
	.set _ZN7rocprim17ROCPRIM_304000_NS6detail18single_scan_kernelILb0ENS1_19wrapped_scan_configINS0_14default_configEiEEPKiPlSt4plusIvEiiEEvT1_mT4_T2_T3_.uses_flat_scratch, 0
	.set _ZN7rocprim17ROCPRIM_304000_NS6detail18single_scan_kernelILb0ENS1_19wrapped_scan_configINS0_14default_configEiEEPKiPlSt4plusIvEiiEEvT1_mT4_T2_T3_.has_dyn_sized_stack, 0
	.set _ZN7rocprim17ROCPRIM_304000_NS6detail18single_scan_kernelILb0ENS1_19wrapped_scan_configINS0_14default_configEiEEPKiPlSt4plusIvEiiEEvT1_mT4_T2_T3_.has_recursion, 0
	.set _ZN7rocprim17ROCPRIM_304000_NS6detail18single_scan_kernelILb0ENS1_19wrapped_scan_configINS0_14default_configEiEEPKiPlSt4plusIvEiiEEvT1_mT4_T2_T3_.has_indirect_call, 0
	.section	.AMDGPU.csdata,"",@progbits
; Kernel info:
; codeLenInByte = 2476
; TotalNumSgprs: 40
; NumVgprs: 40
; ScratchSize: 0
; MemoryBound: 0
; FloatMode: 240
; IeeeMode: 1
; LDSByteSize: 15360 bytes/workgroup (compile time only)
; SGPRBlocks: 12
; VGPRBlocks: 12
; NumSGPRsForWavesPerEU: 102
; NumVGPRsForWavesPerEU: 49
; Occupancy: 4
; WaveLimiterHint : 0
; COMPUTE_PGM_RSRC2:SCRATCH_EN: 0
; COMPUTE_PGM_RSRC2:USER_SGPR: 6
; COMPUTE_PGM_RSRC2:TRAP_HANDLER: 0
; COMPUTE_PGM_RSRC2:TGID_X_EN: 1
; COMPUTE_PGM_RSRC2:TGID_Y_EN: 0
; COMPUTE_PGM_RSRC2:TGID_Z_EN: 0
; COMPUTE_PGM_RSRC2:TIDIG_COMP_CNT: 0
	.section	.text._ZN7rocprim17ROCPRIM_304000_NS6detail20lookback_scan_kernelILNS1_25lookback_scan_determinismE0ELb1ENS1_19wrapped_scan_configINS0_14default_configEiEEPKiPiN2at4cuda3cub12_GLOBAL__N_15SumOpIiEEiiNS1_19lookback_scan_stateIiLb1ELb1EEEEEvT2_T3_mT5_T4_T7_jPT6_SO_bb,"axG",@progbits,_ZN7rocprim17ROCPRIM_304000_NS6detail20lookback_scan_kernelILNS1_25lookback_scan_determinismE0ELb1ENS1_19wrapped_scan_configINS0_14default_configEiEEPKiPiN2at4cuda3cub12_GLOBAL__N_15SumOpIiEEiiNS1_19lookback_scan_stateIiLb1ELb1EEEEEvT2_T3_mT5_T4_T7_jPT6_SO_bb,comdat
	.globl	_ZN7rocprim17ROCPRIM_304000_NS6detail20lookback_scan_kernelILNS1_25lookback_scan_determinismE0ELb1ENS1_19wrapped_scan_configINS0_14default_configEiEEPKiPiN2at4cuda3cub12_GLOBAL__N_15SumOpIiEEiiNS1_19lookback_scan_stateIiLb1ELb1EEEEEvT2_T3_mT5_T4_T7_jPT6_SO_bb ; -- Begin function _ZN7rocprim17ROCPRIM_304000_NS6detail20lookback_scan_kernelILNS1_25lookback_scan_determinismE0ELb1ENS1_19wrapped_scan_configINS0_14default_configEiEEPKiPiN2at4cuda3cub12_GLOBAL__N_15SumOpIiEEiiNS1_19lookback_scan_stateIiLb1ELb1EEEEEvT2_T3_mT5_T4_T7_jPT6_SO_bb
	.p2align	8
	.type	_ZN7rocprim17ROCPRIM_304000_NS6detail20lookback_scan_kernelILNS1_25lookback_scan_determinismE0ELb1ENS1_19wrapped_scan_configINS0_14default_configEiEEPKiPiN2at4cuda3cub12_GLOBAL__N_15SumOpIiEEiiNS1_19lookback_scan_stateIiLb1ELb1EEEEEvT2_T3_mT5_T4_T7_jPT6_SO_bb,@function
_ZN7rocprim17ROCPRIM_304000_NS6detail20lookback_scan_kernelILNS1_25lookback_scan_determinismE0ELb1ENS1_19wrapped_scan_configINS0_14default_configEiEEPKiPiN2at4cuda3cub12_GLOBAL__N_15SumOpIiEEiiNS1_19lookback_scan_stateIiLb1ELb1EEEEEvT2_T3_mT5_T4_T7_jPT6_SO_bb: ; @_ZN7rocprim17ROCPRIM_304000_NS6detail20lookback_scan_kernelILNS1_25lookback_scan_determinismE0ELb1ENS1_19wrapped_scan_configINS0_14default_configEiEEPKiPiN2at4cuda3cub12_GLOBAL__N_15SumOpIiEEiiNS1_19lookback_scan_stateIiLb1ELb1EEEEEvT2_T3_mT5_T4_T7_jPT6_SO_bb
; %bb.0:
	s_endpgm
	.section	.rodata,"a",@progbits
	.p2align	6, 0x0
	.amdhsa_kernel _ZN7rocprim17ROCPRIM_304000_NS6detail20lookback_scan_kernelILNS1_25lookback_scan_determinismE0ELb1ENS1_19wrapped_scan_configINS0_14default_configEiEEPKiPiN2at4cuda3cub12_GLOBAL__N_15SumOpIiEEiiNS1_19lookback_scan_stateIiLb1ELb1EEEEEvT2_T3_mT5_T4_T7_jPT6_SO_bb
		.amdhsa_group_segment_fixed_size 0
		.amdhsa_private_segment_fixed_size 0
		.amdhsa_kernarg_size 68
		.amdhsa_user_sgpr_count 6
		.amdhsa_user_sgpr_private_segment_buffer 1
		.amdhsa_user_sgpr_dispatch_ptr 0
		.amdhsa_user_sgpr_queue_ptr 0
		.amdhsa_user_sgpr_kernarg_segment_ptr 1
		.amdhsa_user_sgpr_dispatch_id 0
		.amdhsa_user_sgpr_flat_scratch_init 0
		.amdhsa_user_sgpr_private_segment_size 0
		.amdhsa_uses_dynamic_stack 0
		.amdhsa_system_sgpr_private_segment_wavefront_offset 0
		.amdhsa_system_sgpr_workgroup_id_x 1
		.amdhsa_system_sgpr_workgroup_id_y 0
		.amdhsa_system_sgpr_workgroup_id_z 0
		.amdhsa_system_sgpr_workgroup_info 0
		.amdhsa_system_vgpr_workitem_id 0
		.amdhsa_next_free_vgpr 1
		.amdhsa_next_free_sgpr 0
		.amdhsa_reserve_vcc 0
		.amdhsa_reserve_flat_scratch 0
		.amdhsa_float_round_mode_32 0
		.amdhsa_float_round_mode_16_64 0
		.amdhsa_float_denorm_mode_32 3
		.amdhsa_float_denorm_mode_16_64 3
		.amdhsa_dx10_clamp 1
		.amdhsa_ieee_mode 1
		.amdhsa_fp16_overflow 0
		.amdhsa_exception_fp_ieee_invalid_op 0
		.amdhsa_exception_fp_denorm_src 0
		.amdhsa_exception_fp_ieee_div_zero 0
		.amdhsa_exception_fp_ieee_overflow 0
		.amdhsa_exception_fp_ieee_underflow 0
		.amdhsa_exception_fp_ieee_inexact 0
		.amdhsa_exception_int_div_zero 0
	.end_amdhsa_kernel
	.section	.text._ZN7rocprim17ROCPRIM_304000_NS6detail20lookback_scan_kernelILNS1_25lookback_scan_determinismE0ELb1ENS1_19wrapped_scan_configINS0_14default_configEiEEPKiPiN2at4cuda3cub12_GLOBAL__N_15SumOpIiEEiiNS1_19lookback_scan_stateIiLb1ELb1EEEEEvT2_T3_mT5_T4_T7_jPT6_SO_bb,"axG",@progbits,_ZN7rocprim17ROCPRIM_304000_NS6detail20lookback_scan_kernelILNS1_25lookback_scan_determinismE0ELb1ENS1_19wrapped_scan_configINS0_14default_configEiEEPKiPiN2at4cuda3cub12_GLOBAL__N_15SumOpIiEEiiNS1_19lookback_scan_stateIiLb1ELb1EEEEEvT2_T3_mT5_T4_T7_jPT6_SO_bb,comdat
.Lfunc_end15:
	.size	_ZN7rocprim17ROCPRIM_304000_NS6detail20lookback_scan_kernelILNS1_25lookback_scan_determinismE0ELb1ENS1_19wrapped_scan_configINS0_14default_configEiEEPKiPiN2at4cuda3cub12_GLOBAL__N_15SumOpIiEEiiNS1_19lookback_scan_stateIiLb1ELb1EEEEEvT2_T3_mT5_T4_T7_jPT6_SO_bb, .Lfunc_end15-_ZN7rocprim17ROCPRIM_304000_NS6detail20lookback_scan_kernelILNS1_25lookback_scan_determinismE0ELb1ENS1_19wrapped_scan_configINS0_14default_configEiEEPKiPiN2at4cuda3cub12_GLOBAL__N_15SumOpIiEEiiNS1_19lookback_scan_stateIiLb1ELb1EEEEEvT2_T3_mT5_T4_T7_jPT6_SO_bb
                                        ; -- End function
	.set _ZN7rocprim17ROCPRIM_304000_NS6detail20lookback_scan_kernelILNS1_25lookback_scan_determinismE0ELb1ENS1_19wrapped_scan_configINS0_14default_configEiEEPKiPiN2at4cuda3cub12_GLOBAL__N_15SumOpIiEEiiNS1_19lookback_scan_stateIiLb1ELb1EEEEEvT2_T3_mT5_T4_T7_jPT6_SO_bb.num_vgpr, 0
	.set _ZN7rocprim17ROCPRIM_304000_NS6detail20lookback_scan_kernelILNS1_25lookback_scan_determinismE0ELb1ENS1_19wrapped_scan_configINS0_14default_configEiEEPKiPiN2at4cuda3cub12_GLOBAL__N_15SumOpIiEEiiNS1_19lookback_scan_stateIiLb1ELb1EEEEEvT2_T3_mT5_T4_T7_jPT6_SO_bb.num_agpr, 0
	.set _ZN7rocprim17ROCPRIM_304000_NS6detail20lookback_scan_kernelILNS1_25lookback_scan_determinismE0ELb1ENS1_19wrapped_scan_configINS0_14default_configEiEEPKiPiN2at4cuda3cub12_GLOBAL__N_15SumOpIiEEiiNS1_19lookback_scan_stateIiLb1ELb1EEEEEvT2_T3_mT5_T4_T7_jPT6_SO_bb.numbered_sgpr, 0
	.set _ZN7rocprim17ROCPRIM_304000_NS6detail20lookback_scan_kernelILNS1_25lookback_scan_determinismE0ELb1ENS1_19wrapped_scan_configINS0_14default_configEiEEPKiPiN2at4cuda3cub12_GLOBAL__N_15SumOpIiEEiiNS1_19lookback_scan_stateIiLb1ELb1EEEEEvT2_T3_mT5_T4_T7_jPT6_SO_bb.num_named_barrier, 0
	.set _ZN7rocprim17ROCPRIM_304000_NS6detail20lookback_scan_kernelILNS1_25lookback_scan_determinismE0ELb1ENS1_19wrapped_scan_configINS0_14default_configEiEEPKiPiN2at4cuda3cub12_GLOBAL__N_15SumOpIiEEiiNS1_19lookback_scan_stateIiLb1ELb1EEEEEvT2_T3_mT5_T4_T7_jPT6_SO_bb.private_seg_size, 0
	.set _ZN7rocprim17ROCPRIM_304000_NS6detail20lookback_scan_kernelILNS1_25lookback_scan_determinismE0ELb1ENS1_19wrapped_scan_configINS0_14default_configEiEEPKiPiN2at4cuda3cub12_GLOBAL__N_15SumOpIiEEiiNS1_19lookback_scan_stateIiLb1ELb1EEEEEvT2_T3_mT5_T4_T7_jPT6_SO_bb.uses_vcc, 0
	.set _ZN7rocprim17ROCPRIM_304000_NS6detail20lookback_scan_kernelILNS1_25lookback_scan_determinismE0ELb1ENS1_19wrapped_scan_configINS0_14default_configEiEEPKiPiN2at4cuda3cub12_GLOBAL__N_15SumOpIiEEiiNS1_19lookback_scan_stateIiLb1ELb1EEEEEvT2_T3_mT5_T4_T7_jPT6_SO_bb.uses_flat_scratch, 0
	.set _ZN7rocprim17ROCPRIM_304000_NS6detail20lookback_scan_kernelILNS1_25lookback_scan_determinismE0ELb1ENS1_19wrapped_scan_configINS0_14default_configEiEEPKiPiN2at4cuda3cub12_GLOBAL__N_15SumOpIiEEiiNS1_19lookback_scan_stateIiLb1ELb1EEEEEvT2_T3_mT5_T4_T7_jPT6_SO_bb.has_dyn_sized_stack, 0
	.set _ZN7rocprim17ROCPRIM_304000_NS6detail20lookback_scan_kernelILNS1_25lookback_scan_determinismE0ELb1ENS1_19wrapped_scan_configINS0_14default_configEiEEPKiPiN2at4cuda3cub12_GLOBAL__N_15SumOpIiEEiiNS1_19lookback_scan_stateIiLb1ELb1EEEEEvT2_T3_mT5_T4_T7_jPT6_SO_bb.has_recursion, 0
	.set _ZN7rocprim17ROCPRIM_304000_NS6detail20lookback_scan_kernelILNS1_25lookback_scan_determinismE0ELb1ENS1_19wrapped_scan_configINS0_14default_configEiEEPKiPiN2at4cuda3cub12_GLOBAL__N_15SumOpIiEEiiNS1_19lookback_scan_stateIiLb1ELb1EEEEEvT2_T3_mT5_T4_T7_jPT6_SO_bb.has_indirect_call, 0
	.section	.AMDGPU.csdata,"",@progbits
; Kernel info:
; codeLenInByte = 4
; TotalNumSgprs: 4
; NumVgprs: 0
; ScratchSize: 0
; MemoryBound: 0
; FloatMode: 240
; IeeeMode: 1
; LDSByteSize: 0 bytes/workgroup (compile time only)
; SGPRBlocks: 0
; VGPRBlocks: 0
; NumSGPRsForWavesPerEU: 4
; NumVGPRsForWavesPerEU: 1
; Occupancy: 10
; WaveLimiterHint : 0
; COMPUTE_PGM_RSRC2:SCRATCH_EN: 0
; COMPUTE_PGM_RSRC2:USER_SGPR: 6
; COMPUTE_PGM_RSRC2:TRAP_HANDLER: 0
; COMPUTE_PGM_RSRC2:TGID_X_EN: 1
; COMPUTE_PGM_RSRC2:TGID_Y_EN: 0
; COMPUTE_PGM_RSRC2:TGID_Z_EN: 0
; COMPUTE_PGM_RSRC2:TIDIG_COMP_CNT: 0
	.section	.text._ZN7rocprim17ROCPRIM_304000_NS6detail20lookback_scan_kernelILNS1_25lookback_scan_determinismE0ELb1ENS1_19wrapped_scan_configINS0_14default_configEiEEPKiPiN2at4cuda3cub12_GLOBAL__N_15SumOpIiEEiiNS1_19lookback_scan_stateIiLb0ELb1EEEEEvT2_T3_mT5_T4_T7_jPT6_SO_bb,"axG",@progbits,_ZN7rocprim17ROCPRIM_304000_NS6detail20lookback_scan_kernelILNS1_25lookback_scan_determinismE0ELb1ENS1_19wrapped_scan_configINS0_14default_configEiEEPKiPiN2at4cuda3cub12_GLOBAL__N_15SumOpIiEEiiNS1_19lookback_scan_stateIiLb0ELb1EEEEEvT2_T3_mT5_T4_T7_jPT6_SO_bb,comdat
	.globl	_ZN7rocprim17ROCPRIM_304000_NS6detail20lookback_scan_kernelILNS1_25lookback_scan_determinismE0ELb1ENS1_19wrapped_scan_configINS0_14default_configEiEEPKiPiN2at4cuda3cub12_GLOBAL__N_15SumOpIiEEiiNS1_19lookback_scan_stateIiLb0ELb1EEEEEvT2_T3_mT5_T4_T7_jPT6_SO_bb ; -- Begin function _ZN7rocprim17ROCPRIM_304000_NS6detail20lookback_scan_kernelILNS1_25lookback_scan_determinismE0ELb1ENS1_19wrapped_scan_configINS0_14default_configEiEEPKiPiN2at4cuda3cub12_GLOBAL__N_15SumOpIiEEiiNS1_19lookback_scan_stateIiLb0ELb1EEEEEvT2_T3_mT5_T4_T7_jPT6_SO_bb
	.p2align	8
	.type	_ZN7rocprim17ROCPRIM_304000_NS6detail20lookback_scan_kernelILNS1_25lookback_scan_determinismE0ELb1ENS1_19wrapped_scan_configINS0_14default_configEiEEPKiPiN2at4cuda3cub12_GLOBAL__N_15SumOpIiEEiiNS1_19lookback_scan_stateIiLb0ELb1EEEEEvT2_T3_mT5_T4_T7_jPT6_SO_bb,@function
_ZN7rocprim17ROCPRIM_304000_NS6detail20lookback_scan_kernelILNS1_25lookback_scan_determinismE0ELb1ENS1_19wrapped_scan_configINS0_14default_configEiEEPKiPiN2at4cuda3cub12_GLOBAL__N_15SumOpIiEEiiNS1_19lookback_scan_stateIiLb0ELb1EEEEEvT2_T3_mT5_T4_T7_jPT6_SO_bb: ; @_ZN7rocprim17ROCPRIM_304000_NS6detail20lookback_scan_kernelILNS1_25lookback_scan_determinismE0ELb1ENS1_19wrapped_scan_configINS0_14default_configEiEEPKiPiN2at4cuda3cub12_GLOBAL__N_15SumOpIiEEiiNS1_19lookback_scan_stateIiLb0ELb1EEEEEvT2_T3_mT5_T4_T7_jPT6_SO_bb
; %bb.0:
	s_load_dword s3, s[4:5], 0x28
	s_load_dwordx4 s[24:27], s[4:5], 0x0
	s_load_dwordx2 s[0:1], s[4:5], 0x10
	s_mul_i32 s2, s6, 0xf00
	v_lshlrev_b32_e32 v31, 2, v0
	s_waitcnt lgkmcnt(0)
	s_add_i32 s7, s3, -1
	s_mul_i32 s8, s7, 0xf00
	s_sub_u32 s23, s0, s8
	s_subb_u32 s33, s1, 0
	s_mov_b32 s3, 0
	s_cmp_lg_u32 s6, s7
	s_cselect_b64 s[28:29], -1, 0
	s_lshl_b64 s[30:31], s[2:3], 2
	s_add_u32 s2, s24, s30
	s_addc_u32 s3, s25, s31
	s_mov_b64 s[0:1], -1
	s_and_b64 vcc, exec, s[28:29]
	s_cbranch_vccz .LBB16_2
; %bb.1:
	v_mov_b32_e32 v1, s3
	v_add_co_u32_e32 v5, vcc, s2, v31
	v_addc_co_u32_e32 v6, vcc, 0, v1, vcc
	v_add_co_u32_e32 v1, vcc, 0x1000, v5
	v_addc_co_u32_e32 v2, vcc, 0, v6, vcc
	;; [unrolled: 2-line block ×3, first 2 shown]
	global_load_dword v7, v31, s[2:3]
	global_load_dword v8, v31, s[2:3] offset:1024
	global_load_dword v9, v31, s[2:3] offset:2048
	;; [unrolled: 1-line block ×3, first 2 shown]
	global_load_dword v11, v[1:2], off
	global_load_dword v12, v[1:2], off offset:1024
	global_load_dword v13, v[1:2], off offset:2048
	;; [unrolled: 1-line block ×3, first 2 shown]
	global_load_dword v15, v[3:4], off
	global_load_dword v16, v[3:4], off offset:1024
	global_load_dword v17, v[3:4], off offset:2048
	;; [unrolled: 1-line block ×3, first 2 shown]
	v_add_co_u32_e32 v1, vcc, 0x3000, v5
	v_addc_co_u32_e32 v2, vcc, 0, v6, vcc
	global_load_dword v3, v[1:2], off
	global_load_dword v4, v[1:2], off offset:1024
	global_load_dword v5, v[1:2], off offset:2048
	s_mov_b64 s[0:1], 0
	s_waitcnt vmcnt(13)
	ds_write2st64_b32 v31, v7, v8 offset1:4
	s_waitcnt vmcnt(11)
	ds_write2st64_b32 v31, v9, v10 offset0:8 offset1:12
	s_waitcnt vmcnt(9)
	ds_write2st64_b32 v31, v11, v12 offset0:16 offset1:20
	;; [unrolled: 2-line block ×6, first 2 shown]
	s_waitcnt vmcnt(0)
	ds_write_b32 v31, v5 offset:14336
	s_waitcnt lgkmcnt(0)
	s_barrier
.LBB16_2:
	s_andn2_b64 vcc, exec, s[0:1]
	v_cmp_gt_u32_e64 s[0:1], s23, v0
	s_cbranch_vccnz .LBB16_34
; %bb.3:
	s_load_dword s8, s[2:3], 0x0
	v_mov_b32_e32 v1, s3
	v_add_co_u32_e32 v17, vcc, s2, v31
	v_addc_co_u32_e32 v18, vcc, 0, v1, vcc
	s_waitcnt lgkmcnt(0)
	s_mov_b32 s9, s8
	s_mov_b32 s10, s8
	;; [unrolled: 1-line block ×14, first 2 shown]
	v_mov_b32_e32 v1, s8
	v_mov_b32_e32 v2, s9
	;; [unrolled: 1-line block ×16, first 2 shown]
	s_and_saveexec_b64 s[2:3], s[0:1]
	s_cbranch_execz .LBB16_5
; %bb.4:
	global_load_dword v1, v[17:18], off
	v_mov_b32_e32 v2, s8
	v_mov_b32_e32 v3, s8
	;; [unrolled: 1-line block ×14, first 2 shown]
.LBB16_5:
	s_or_b64 exec, exec, s[2:3]
	v_or_b32_e32 v16, 0x100, v0
	v_cmp_gt_u32_e32 vcc, s23, v16
	s_and_saveexec_b64 s[0:1], vcc
	s_cbranch_execz .LBB16_7
; %bb.6:
	global_load_dword v2, v[17:18], off offset:1024
.LBB16_7:
	s_or_b64 exec, exec, s[0:1]
	v_or_b32_e32 v16, 0x200, v0
	v_cmp_gt_u32_e32 vcc, s23, v16
	s_and_saveexec_b64 s[0:1], vcc
	s_cbranch_execz .LBB16_9
; %bb.8:
	global_load_dword v3, v[17:18], off offset:2048
.LBB16_9:
	;; [unrolled: 8-line block ×3, first 2 shown]
	s_or_b64 exec, exec, s[0:1]
	v_or_b32_e32 v16, 0x400, v0
	v_cmp_gt_u32_e32 vcc, s23, v16
	s_and_saveexec_b64 s[0:1], vcc
	s_cbranch_execz .LBB16_13
; %bb.12:
	v_add_co_u32_e32 v19, vcc, 0x1000, v17
	v_addc_co_u32_e32 v20, vcc, 0, v18, vcc
	global_load_dword v5, v[19:20], off
.LBB16_13:
	s_or_b64 exec, exec, s[0:1]
	v_or_b32_e32 v16, 0x500, v0
	v_cmp_gt_u32_e32 vcc, s23, v16
	s_and_saveexec_b64 s[0:1], vcc
	s_cbranch_execz .LBB16_15
; %bb.14:
	v_add_co_u32_e32 v19, vcc, 0x1000, v17
	v_addc_co_u32_e32 v20, vcc, 0, v18, vcc
	global_load_dword v6, v[19:20], off offset:1024
.LBB16_15:
	s_or_b64 exec, exec, s[0:1]
	v_or_b32_e32 v16, 0x600, v0
	v_cmp_gt_u32_e32 vcc, s23, v16
	s_and_saveexec_b64 s[0:1], vcc
	s_cbranch_execz .LBB16_17
; %bb.16:
	v_add_co_u32_e32 v19, vcc, 0x1000, v17
	v_addc_co_u32_e32 v20, vcc, 0, v18, vcc
	global_load_dword v7, v[19:20], off offset:2048
.LBB16_17:
	;; [unrolled: 10-line block ×3, first 2 shown]
	s_or_b64 exec, exec, s[0:1]
	v_or_b32_e32 v16, 0x800, v0
	v_cmp_gt_u32_e32 vcc, s23, v16
	s_and_saveexec_b64 s[0:1], vcc
	s_cbranch_execz .LBB16_21
; %bb.20:
	v_add_co_u32_e32 v19, vcc, 0x2000, v17
	v_addc_co_u32_e32 v20, vcc, 0, v18, vcc
	global_load_dword v9, v[19:20], off
.LBB16_21:
	s_or_b64 exec, exec, s[0:1]
	v_or_b32_e32 v16, 0x900, v0
	v_cmp_gt_u32_e32 vcc, s23, v16
	s_and_saveexec_b64 s[0:1], vcc
	s_cbranch_execz .LBB16_23
; %bb.22:
	v_add_co_u32_e32 v19, vcc, 0x2000, v17
	v_addc_co_u32_e32 v20, vcc, 0, v18, vcc
	global_load_dword v10, v[19:20], off offset:1024
.LBB16_23:
	s_or_b64 exec, exec, s[0:1]
	v_or_b32_e32 v16, 0xa00, v0
	v_cmp_gt_u32_e32 vcc, s23, v16
	s_and_saveexec_b64 s[0:1], vcc
	s_cbranch_execz .LBB16_25
; %bb.24:
	v_add_co_u32_e32 v19, vcc, 0x2000, v17
	v_addc_co_u32_e32 v20, vcc, 0, v18, vcc
	global_load_dword v11, v[19:20], off offset:2048
.LBB16_25:
	;; [unrolled: 10-line block ×3, first 2 shown]
	s_or_b64 exec, exec, s[0:1]
	v_or_b32_e32 v16, 0xc00, v0
	v_cmp_gt_u32_e32 vcc, s23, v16
	s_and_saveexec_b64 s[0:1], vcc
	s_cbranch_execz .LBB16_29
; %bb.28:
	v_add_co_u32_e32 v19, vcc, 0x3000, v17
	v_addc_co_u32_e32 v20, vcc, 0, v18, vcc
	global_load_dword v13, v[19:20], off
.LBB16_29:
	s_or_b64 exec, exec, s[0:1]
	v_or_b32_e32 v16, 0xd00, v0
	v_cmp_gt_u32_e32 vcc, s23, v16
	s_and_saveexec_b64 s[0:1], vcc
	s_cbranch_execz .LBB16_31
; %bb.30:
	v_add_co_u32_e32 v19, vcc, 0x3000, v17
	v_addc_co_u32_e32 v20, vcc, 0, v18, vcc
	global_load_dword v14, v[19:20], off offset:1024
.LBB16_31:
	s_or_b64 exec, exec, s[0:1]
	v_or_b32_e32 v16, 0xe00, v0
	v_cmp_gt_u32_e32 vcc, s23, v16
	s_and_saveexec_b64 s[0:1], vcc
	s_cbranch_execz .LBB16_33
; %bb.32:
	v_add_co_u32_e32 v15, vcc, 0x3000, v17
	v_addc_co_u32_e32 v16, vcc, 0, v18, vcc
	global_load_dword v15, v[15:16], off offset:2048
.LBB16_33:
	s_or_b64 exec, exec, s[0:1]
	s_waitcnt vmcnt(0)
	ds_write2st64_b32 v31, v1, v2 offset1:4
	ds_write2st64_b32 v31, v3, v4 offset0:8 offset1:12
	ds_write2st64_b32 v31, v5, v6 offset0:16 offset1:20
	;; [unrolled: 1-line block ×6, first 2 shown]
	ds_write_b32 v31, v15 offset:14336
	s_waitcnt lgkmcnt(0)
	s_barrier
.LBB16_34:
	s_load_dwordx2 s[8:9], s[4:5], 0x20
	v_mul_u32_u24_e32 v32, 60, v0
	s_waitcnt lgkmcnt(0)
	ds_read2_b32 v[29:30], v32 offset1:1
	ds_read2_b32 v[27:28], v32 offset0:2 offset1:3
	ds_read2_b32 v[25:26], v32 offset0:4 offset1:5
	;; [unrolled: 1-line block ×6, first 2 shown]
	ds_read_b32 v33, v32 offset:56
	s_waitcnt lgkmcnt(6)
	v_add3_u32 v1, v30, v29, v27
	s_cmp_lg_u32 s6, 0
	s_waitcnt lgkmcnt(5)
	v_add3_u32 v35, v1, v28, v25
	v_lshrrev_b32_e32 v34, 3, v0
	v_cmp_gt_u32_e32 vcc, 64, v0
	s_waitcnt lgkmcnt(0)
	s_barrier
	s_cbranch_scc0 .LBB16_54
; %bb.35:
	v_add3_u32 v1, v35, v26, v23
	v_add3_u32 v1, v1, v24, v21
	v_add3_u32 v1, v1, v22, v19
	v_add3_u32 v1, v1, v20, v17
	v_and_b32_e32 v2, 28, v34
	v_add3_u32 v1, v1, v18, v33
	v_lshl_add_u32 v2, v0, 2, v2
	ds_write_b32 v2, v1
	s_waitcnt lgkmcnt(0)
	s_barrier
	s_and_saveexec_b64 s[2:3], vcc
	s_cbranch_execz .LBB16_37
; %bb.36:
	v_lshrrev_b32_e32 v2, 1, v0
	v_and_b32_e32 v2, 0x7c, v2
	v_lshl_add_u32 v6, v0, 4, v2
	ds_read2_b32 v[2:3], v6 offset1:1
	ds_read2_b32 v[4:5], v6 offset0:2 offset1:3
	v_mbcnt_lo_u32_b32 v7, -1, 0
	v_mbcnt_hi_u32_b32 v7, -1, v7
	v_and_b32_e32 v8, 15, v7
	s_waitcnt lgkmcnt(1)
	v_add_u32_e32 v9, v3, v2
	s_waitcnt lgkmcnt(0)
	v_add3_u32 v9, v9, v4, v5
	v_cmp_ne_u32_e64 s[0:1], 0, v8
	s_nop 0
	v_mov_b32_dpp v10, v9 row_shr:1 row_mask:0xf bank_mask:0xf
	v_cndmask_b32_e64 v10, 0, v10, s[0:1]
	v_add_u32_e32 v9, v10, v9
	v_cmp_lt_u32_e64 s[0:1], 1, v8
	s_nop 0
	v_mov_b32_dpp v10, v9 row_shr:2 row_mask:0xf bank_mask:0xf
	v_cndmask_b32_e64 v10, 0, v10, s[0:1]
	v_add_u32_e32 v9, v9, v10
	v_cmp_lt_u32_e64 s[0:1], 3, v8
	;; [unrolled: 5-line block ×3, first 2 shown]
	s_nop 0
	v_mov_b32_dpp v10, v9 row_shr:8 row_mask:0xf bank_mask:0xf
	v_cndmask_b32_e64 v8, 0, v10, s[0:1]
	v_add_u32_e32 v8, v9, v8
	v_bfe_i32 v10, v7, 4, 1
	v_cmp_lt_u32_e64 s[0:1], 31, v7
	v_mov_b32_dpp v9, v8 row_bcast:15 row_mask:0xf bank_mask:0xf
	v_and_b32_e32 v9, v10, v9
	v_add_u32_e32 v8, v8, v9
	v_and_b32_e32 v10, 64, v7
	s_nop 0
	v_mov_b32_dpp v9, v8 row_bcast:31 row_mask:0xf bank_mask:0xf
	v_cndmask_b32_e64 v9, 0, v9, s[0:1]
	v_add_u32_e32 v8, v8, v9
	v_add_u32_e32 v9, -1, v7
	v_cmp_lt_i32_e64 s[0:1], v9, v10
	v_cndmask_b32_e64 v7, v9, v7, s[0:1]
	v_lshlrev_b32_e32 v7, 2, v7
	ds_bpermute_b32 v7, v7, v8
	v_cmp_eq_u32_e64 s[0:1], 0, v0
	s_waitcnt lgkmcnt(0)
	v_add_u32_e32 v2, v7, v2
	v_cndmask_b32_e64 v1, v2, v1, s[0:1]
	v_add_u32_e32 v2, v1, v3
	ds_write2_b32 v6, v1, v2 offset1:1
	v_add_u32_e32 v1, v2, v4
	v_add_u32_e32 v2, v1, v5
	ds_write2_b32 v6, v1, v2 offset0:2 offset1:3
.LBB16_37:
	s_or_b64 exec, exec, s[2:3]
	v_mov_b32_e32 v10, 0
	v_cmp_eq_u32_e64 s[0:1], 0, v0
	v_cmp_ne_u32_e64 s[2:3], 0, v0
	s_waitcnt lgkmcnt(0)
	s_barrier
	s_and_saveexec_b64 s[10:11], s[2:3]
; %bb.38:
	v_add_u32_e32 v1, -1, v0
	v_lshrrev_b32_e32 v2, 3, v1
	v_and_b32_e32 v2, 0x1ffffffc, v2
	v_lshl_add_u32 v1, v1, 2, v2
	ds_read_b32 v10, v1
; %bb.39:
	s_or_b64 exec, exec, s[10:11]
	s_and_saveexec_b64 s[10:11], vcc
	s_cbranch_execz .LBB16_59
; %bb.40:
	v_mov_b32_e32 v6, 0
	ds_read_b32 v1, v6 offset:1048
	v_mbcnt_lo_u32_b32 v2, -1, 0
	v_mbcnt_hi_u32_b32 v3, -1, v2
	s_mov_b32 s15, 0
	v_cmp_eq_u32_e64 s[2:3], 0, v3
	s_and_saveexec_b64 s[12:13], s[2:3]
	s_cbranch_execz .LBB16_42
; %bb.41:
	s_add_i32 s14, s6, 64
	s_lshl_b64 s[14:15], s[14:15], 3
	s_add_u32 s14, s8, s14
	v_mov_b32_e32 v2, 1
	s_addc_u32 s15, s9, s15
	s_waitcnt lgkmcnt(0)
	global_store_dwordx2 v6, v[1:2], s[14:15]
.LBB16_42:
	s_or_b64 exec, exec, s[12:13]
	v_xad_u32 v2, v3, -1, s6
	v_add_u32_e32 v5, 64, v2
	v_lshlrev_b64 v[4:5], 3, v[5:6]
	v_mov_b32_e32 v8, s9
	v_add_co_u32_e32 v7, vcc, s8, v4
	v_addc_co_u32_e32 v8, vcc, v8, v5, vcc
	global_load_dwordx2 v[4:5], v[7:8], off glc
	s_waitcnt vmcnt(0)
	v_cmp_eq_u16_sdwa s[14:15], v5, v6 src0_sel:BYTE_0 src1_sel:DWORD
	s_and_saveexec_b64 s[12:13], s[14:15]
	s_cbranch_execz .LBB16_46
; %bb.43:
	s_mov_b64 s[14:15], 0
	v_mov_b32_e32 v6, 0
.LBB16_44:                              ; =>This Inner Loop Header: Depth=1
	global_load_dwordx2 v[4:5], v[7:8], off glc
	s_waitcnt vmcnt(0)
	v_cmp_ne_u16_sdwa s[16:17], v5, v6 src0_sel:BYTE_0 src1_sel:DWORD
	s_or_b64 s[14:15], s[16:17], s[14:15]
	s_andn2_b64 exec, exec, s[14:15]
	s_cbranch_execnz .LBB16_44
; %bb.45:
	s_or_b64 exec, exec, s[14:15]
.LBB16_46:
	s_or_b64 exec, exec, s[12:13]
	v_and_b32_e32 v37, 63, v3
	v_mov_b32_e32 v11, 2
	v_lshlrev_b64 v[6:7], v3, -1
	v_cmp_ne_u32_e32 vcc, 63, v37
	v_cmp_eq_u16_sdwa s[12:13], v5, v11 src0_sel:BYTE_0 src1_sel:DWORD
	v_addc_co_u32_e32 v12, vcc, 0, v3, vcc
	v_and_b32_e32 v8, s13, v7
	v_lshlrev_b32_e32 v12, 2, v12
	v_or_b32_e32 v8, 0x80000000, v8
	ds_bpermute_b32 v14, v12, v4
	v_and_b32_e32 v9, s12, v6
	v_ffbl_b32_e32 v8, v8
	v_add_u32_e32 v8, 32, v8
	v_ffbl_b32_e32 v9, v9
	v_min_u32_e32 v8, v9, v8
	v_add_u32_e32 v13, 1, v3
	v_cmp_le_u32_e32 vcc, v13, v8
	s_waitcnt lgkmcnt(0)
	v_cndmask_b32_e32 v9, 0, v14, vcc
	v_cmp_gt_u32_e32 vcc, 62, v37
	v_add_u32_e32 v4, v9, v4
	v_cndmask_b32_e64 v9, 0, 2, vcc
	v_add_lshl_u32 v14, v9, v3, 2
	ds_bpermute_b32 v9, v14, v4
	v_add_u32_e32 v15, 2, v3
	v_cmp_le_u32_e32 vcc, v15, v8
	v_add_u32_e32 v36, 4, v3
	v_add_u32_e32 v39, 8, v3
	s_waitcnt lgkmcnt(0)
	v_cndmask_b32_e32 v9, 0, v9, vcc
	v_cmp_gt_u32_e32 vcc, 60, v37
	v_add_u32_e32 v4, v4, v9
	v_cndmask_b32_e64 v9, 0, 4, vcc
	v_add_lshl_u32 v16, v9, v3, 2
	ds_bpermute_b32 v9, v16, v4
	v_cmp_le_u32_e32 vcc, v36, v8
	v_add_u32_e32 v41, 16, v3
	v_add_u32_e32 v43, 32, v3
	s_waitcnt lgkmcnt(0)
	v_cndmask_b32_e32 v9, 0, v9, vcc
	v_cmp_gt_u32_e32 vcc, 56, v37
	v_add_u32_e32 v4, v4, v9
	v_cndmask_b32_e64 v9, 0, 8, vcc
	v_add_lshl_u32 v38, v9, v3, 2
	ds_bpermute_b32 v9, v38, v4
	v_cmp_le_u32_e32 vcc, v39, v8
	s_waitcnt lgkmcnt(0)
	v_cndmask_b32_e32 v9, 0, v9, vcc
	v_cmp_gt_u32_e32 vcc, 48, v37
	v_add_u32_e32 v4, v4, v9
	v_cndmask_b32_e64 v9, 0, 16, vcc
	v_add_lshl_u32 v40, v9, v3, 2
	ds_bpermute_b32 v9, v40, v4
	v_cmp_le_u32_e32 vcc, v41, v8
	s_waitcnt lgkmcnt(0)
	v_cndmask_b32_e32 v9, 0, v9, vcc
	v_add_u32_e32 v4, v4, v9
	v_mov_b32_e32 v9, 0x80
	v_lshl_or_b32 v42, v3, 2, v9
	ds_bpermute_b32 v9, v42, v4
	v_cmp_le_u32_e32 vcc, v43, v8
	s_waitcnt lgkmcnt(0)
	v_cndmask_b32_e32 v3, 0, v9, vcc
	v_add_u32_e32 v4, v4, v3
	v_mov_b32_e32 v3, 0
	s_branch .LBB16_50
.LBB16_47:                              ;   in Loop: Header=BB16_50 Depth=1
	s_or_b64 exec, exec, s[14:15]
.LBB16_48:                              ;   in Loop: Header=BB16_50 Depth=1
	s_or_b64 exec, exec, s[12:13]
	v_cmp_eq_u16_sdwa s[12:13], v5, v11 src0_sel:BYTE_0 src1_sel:DWORD
	v_and_b32_e32 v8, s13, v7
	v_or_b32_e32 v8, 0x80000000, v8
	ds_bpermute_b32 v44, v12, v4
	v_and_b32_e32 v9, s12, v6
	v_ffbl_b32_e32 v8, v8
	v_add_u32_e32 v8, 32, v8
	v_ffbl_b32_e32 v9, v9
	v_min_u32_e32 v8, v9, v8
	v_cmp_le_u32_e32 vcc, v13, v8
	s_waitcnt lgkmcnt(0)
	v_cndmask_b32_e32 v9, 0, v44, vcc
	v_add_u32_e32 v4, v9, v4
	ds_bpermute_b32 v9, v14, v4
	v_cmp_le_u32_e32 vcc, v15, v8
	v_subrev_u32_e32 v2, 64, v2
	s_mov_b64 s[12:13], 0
	s_waitcnt lgkmcnt(0)
	v_cndmask_b32_e32 v9, 0, v9, vcc
	v_add_u32_e32 v4, v4, v9
	ds_bpermute_b32 v9, v16, v4
	v_cmp_le_u32_e32 vcc, v36, v8
	s_waitcnt lgkmcnt(0)
	v_cndmask_b32_e32 v9, 0, v9, vcc
	v_add_u32_e32 v4, v4, v9
	ds_bpermute_b32 v9, v38, v4
	v_cmp_le_u32_e32 vcc, v39, v8
	;; [unrolled: 5-line block ×4, first 2 shown]
	s_waitcnt lgkmcnt(0)
	v_cndmask_b32_e32 v8, 0, v9, vcc
	v_add3_u32 v4, v8, v37, v4
.LBB16_49:                              ;   in Loop: Header=BB16_50 Depth=1
	s_and_b64 vcc, exec, s[12:13]
	s_cbranch_vccnz .LBB16_55
.LBB16_50:                              ; =>This Loop Header: Depth=1
                                        ;     Child Loop BB16_53 Depth 2
	v_cmp_ne_u16_sdwa s[12:13], v5, v11 src0_sel:BYTE_0 src1_sel:DWORD
	v_mov_b32_e32 v37, v4
	s_cmp_lg_u64 s[12:13], exec
	s_mov_b64 s[12:13], -1
                                        ; implicit-def: $vgpr4
                                        ; implicit-def: $vgpr5
	s_cbranch_scc1 .LBB16_49
; %bb.51:                               ;   in Loop: Header=BB16_50 Depth=1
	v_lshlrev_b64 v[4:5], 3, v[2:3]
	v_mov_b32_e32 v9, s9
	v_add_co_u32_e32 v8, vcc, s8, v4
	v_addc_co_u32_e32 v9, vcc, v9, v5, vcc
	global_load_dwordx2 v[4:5], v[8:9], off glc
	s_waitcnt vmcnt(0)
	v_cmp_eq_u16_sdwa s[14:15], v5, v3 src0_sel:BYTE_0 src1_sel:DWORD
	s_and_saveexec_b64 s[12:13], s[14:15]
	s_cbranch_execz .LBB16_48
; %bb.52:                               ;   in Loop: Header=BB16_50 Depth=1
	s_mov_b64 s[14:15], 0
.LBB16_53:                              ;   Parent Loop BB16_50 Depth=1
                                        ; =>  This Inner Loop Header: Depth=2
	global_load_dwordx2 v[4:5], v[8:9], off glc
	s_waitcnt vmcnt(0)
	v_cmp_ne_u16_sdwa s[16:17], v5, v3 src0_sel:BYTE_0 src1_sel:DWORD
	s_or_b64 s[14:15], s[16:17], s[14:15]
	s_andn2_b64 exec, exec, s[14:15]
	s_cbranch_execnz .LBB16_53
	s_branch .LBB16_47
.LBB16_54:
                                        ; implicit-def: $vgpr1_vgpr2_vgpr3_vgpr4_vgpr5_vgpr6_vgpr7_vgpr8_vgpr9_vgpr10_vgpr11_vgpr12_vgpr13_vgpr14_vgpr15_vgpr16
	s_load_dwordx4 s[0:3], s[4:5], 0x30
	s_cbranch_execnz .LBB16_60
	s_branch .LBB16_69
.LBB16_55:
	s_and_saveexec_b64 s[12:13], s[2:3]
	s_cbranch_execz .LBB16_57
; %bb.56:
	s_add_i32 s2, s6, 64
	s_mov_b32 s3, 0
	s_lshl_b64 s[2:3], s[2:3], 3
	s_add_u32 s2, s8, s2
	v_add_u32_e32 v1, v37, v1
	v_mov_b32_e32 v2, 2
	s_addc_u32 s3, s9, s3
	v_mov_b32_e32 v3, 0
	global_store_dwordx2 v3, v[1:2], s[2:3]
.LBB16_57:
	s_or_b64 exec, exec, s[12:13]
	s_and_b64 exec, exec, s[0:1]
; %bb.58:
	v_mov_b32_e32 v1, 0
	ds_write_b32 v1, v37
.LBB16_59:
	s_or_b64 exec, exec, s[10:11]
	v_mov_b32_e32 v1, 0
	s_waitcnt vmcnt(0) lgkmcnt(0)
	s_barrier
	ds_read_b32 v1, v1
	s_waitcnt lgkmcnt(0)
	v_add_u32_e32 v1, v1, v10
	v_add_u32_e32 v2, v1, v29
	v_add_u32_e32 v3, v2, v30
	v_add_u32_e32 v4, v3, v27
	v_add_u32_e32 v5, v4, v28
	v_add_u32_e32 v6, v5, v25
	v_add_u32_e32 v7, v6, v26
	v_add_u32_e32 v8, v7, v23
	v_add_u32_e32 v9, v8, v24
	v_add_u32_e32 v10, v9, v21
	v_add_u32_e32 v11, v10, v22
	v_add_u32_e32 v12, v11, v19
	v_add_u32_e32 v13, v12, v20
	v_add_u32_e32 v14, v13, v17
	v_add_u32_e32 v15, v14, v18
	s_load_dwordx4 s[0:3], s[4:5], 0x30
	s_branch .LBB16_69
.LBB16_60:
	s_load_dword s6, s[4:5], 0x40
	s_load_dword s7, s[4:5], 0x18
	s_waitcnt lgkmcnt(0)
	s_bitcmp0_b32 s6, 0
	v_mov_b32_e32 v16, s7
	s_cbranch_scc1 .LBB16_62
; %bb.61:
	v_mov_b32_e32 v1, 0
	global_load_dword v2, v1, s[0:1]
	global_load_dword v3, v1, s[24:25] offset:-4
	s_waitcnt vmcnt(0)
	v_add_u32_e32 v16, v3, v2
.LBB16_62:
	v_add3_u32 v1, v35, v26, v23
	v_add3_u32 v1, v1, v24, v21
	;; [unrolled: 1-line block ×4, first 2 shown]
	v_and_b32_e32 v2, 28, v34
	v_add3_u32 v1, v1, v18, v33
	v_lshl_add_u32 v2, v0, 2, v2
	v_cmp_gt_u32_e32 vcc, 64, v0
	ds_write_b32 v2, v1
	s_waitcnt lgkmcnt(0)
	s_barrier
	s_and_saveexec_b64 s[0:1], vcc
	s_cbranch_execz .LBB16_64
; %bb.63:
	v_lshrrev_b32_e32 v2, 1, v0
	v_and_b32_e32 v2, 0x7c, v2
	v_lshl_add_u32 v6, v0, 4, v2
	ds_read2_b32 v[2:3], v6 offset1:1
	ds_read2_b32 v[4:5], v6 offset0:2 offset1:3
	v_mbcnt_lo_u32_b32 v7, -1, 0
	v_mbcnt_hi_u32_b32 v7, -1, v7
	v_and_b32_e32 v8, 15, v7
	s_waitcnt lgkmcnt(1)
	v_add_u32_e32 v9, v3, v2
	s_waitcnt lgkmcnt(0)
	v_add3_u32 v9, v9, v4, v5
	v_cmp_ne_u32_e32 vcc, 0, v8
	s_nop 0
	v_mov_b32_dpp v10, v9 row_shr:1 row_mask:0xf bank_mask:0xf
	v_cndmask_b32_e32 v10, 0, v10, vcc
	v_add_u32_e32 v9, v10, v9
	v_cmp_lt_u32_e32 vcc, 1, v8
	s_nop 0
	v_mov_b32_dpp v10, v9 row_shr:2 row_mask:0xf bank_mask:0xf
	v_cndmask_b32_e32 v10, 0, v10, vcc
	v_add_u32_e32 v9, v9, v10
	v_cmp_lt_u32_e32 vcc, 3, v8
	;; [unrolled: 5-line block ×3, first 2 shown]
	s_nop 0
	v_mov_b32_dpp v10, v9 row_shr:8 row_mask:0xf bank_mask:0xf
	v_cndmask_b32_e32 v8, 0, v10, vcc
	v_add_u32_e32 v8, v9, v8
	v_bfe_i32 v10, v7, 4, 1
	v_cmp_lt_u32_e32 vcc, 31, v7
	v_mov_b32_dpp v9, v8 row_bcast:15 row_mask:0xf bank_mask:0xf
	v_and_b32_e32 v9, v10, v9
	v_add_u32_e32 v8, v8, v9
	v_and_b32_e32 v10, 64, v7
	s_nop 0
	v_mov_b32_dpp v9, v8 row_bcast:31 row_mask:0xf bank_mask:0xf
	v_cndmask_b32_e32 v9, 0, v9, vcc
	v_add_u32_e32 v8, v8, v9
	v_add_u32_e32 v9, -1, v7
	v_cmp_lt_i32_e32 vcc, v9, v10
	v_cndmask_b32_e32 v7, v9, v7, vcc
	v_lshlrev_b32_e32 v7, 2, v7
	ds_bpermute_b32 v7, v7, v8
	v_cmp_eq_u32_e32 vcc, 0, v0
	s_waitcnt lgkmcnt(0)
	v_add_u32_e32 v2, v7, v2
	v_cndmask_b32_e32 v1, v2, v1, vcc
	v_add_u32_e32 v2, v1, v3
	ds_write2_b32 v6, v1, v2 offset1:1
	v_add_u32_e32 v1, v2, v4
	v_add_u32_e32 v2, v1, v5
	ds_write2_b32 v6, v1, v2 offset0:2 offset1:3
.LBB16_64:
	s_or_b64 exec, exec, s[0:1]
	v_cmp_eq_u32_e32 vcc, 0, v0
	v_cmp_ne_u32_e64 s[0:1], 0, v0
	v_mov_b32_e32 v1, v16
	s_waitcnt lgkmcnt(0)
	s_barrier
	s_and_saveexec_b64 s[6:7], s[0:1]
	s_cbranch_execz .LBB16_66
; %bb.65:
	v_add_u32_e32 v1, -1, v0
	v_lshrrev_b32_e32 v2, 3, v1
	v_and_b32_e32 v2, 0x1ffffffc, v2
	v_lshl_add_u32 v1, v1, 2, v2
	ds_read_b32 v1, v1
	s_waitcnt lgkmcnt(0)
	v_add_u32_e32 v1, v1, v16
.LBB16_66:
	s_or_b64 exec, exec, s[6:7]
	v_add_u32_e32 v2, v1, v29
	v_add_u32_e32 v3, v2, v30
	;; [unrolled: 1-line block ×14, first 2 shown]
	s_and_saveexec_b64 s[0:1], vcc
	s_cbranch_execz .LBB16_68
; %bb.67:
	v_mov_b32_e32 v18, 0
	ds_read_b32 v17, v18 offset:1048
	s_waitcnt lgkmcnt(0)
	v_add_u32_e32 v16, v17, v16
	v_mov_b32_e32 v17, 2
	global_store_dwordx2 v18, v[16:17], s[8:9] offset:512
.LBB16_68:
	s_or_b64 exec, exec, s[0:1]
.LBB16_69:
	s_waitcnt lgkmcnt(0)
	s_add_u32 s0, s26, s30
	s_addc_u32 s1, s27, s31
	s_mov_b64 s[6:7], -1
	s_and_b64 vcc, exec, s[28:29]
	s_waitcnt vmcnt(0)
	s_barrier
	s_cbranch_vccz .LBB16_71
; %bb.70:
	v_mov_b32_e32 v33, s1
	v_add_co_u32_e32 v34, vcc, s0, v31
	ds_write2_b32 v32, v1, v2 offset1:1
	ds_write2_b32 v32, v3, v4 offset0:2 offset1:3
	ds_write2_b32 v32, v5, v6 offset0:4 offset1:5
	;; [unrolled: 1-line block ×6, first 2 shown]
	ds_write_b32 v32, v15 offset:56
	s_waitcnt lgkmcnt(0)
	s_barrier
	ds_read2st64_b32 v[16:17], v31 offset1:4
	ds_read2st64_b32 v[18:19], v31 offset0:8 offset1:12
	ds_read2st64_b32 v[20:21], v31 offset0:16 offset1:20
	;; [unrolled: 1-line block ×6, first 2 shown]
	ds_read_b32 v30, v31 offset:14336
	v_addc_co_u32_e32 v33, vcc, 0, v33, vcc
	s_movk_i32 s6, 0x1000
	s_waitcnt lgkmcnt(7)
	global_store_dword v31, v16, s[0:1]
	global_store_dword v31, v17, s[0:1] offset:1024
	s_waitcnt lgkmcnt(6)
	global_store_dword v31, v18, s[0:1] offset:2048
	global_store_dword v31, v19, s[0:1] offset:3072
	v_add_co_u32_e32 v16, vcc, s6, v34
	v_addc_co_u32_e32 v17, vcc, 0, v33, vcc
	s_movk_i32 s6, 0x2000
	v_add_co_u32_e32 v18, vcc, s6, v34
	v_addc_co_u32_e32 v19, vcc, 0, v33, vcc
	s_waitcnt lgkmcnt(5)
	global_store_dword v[18:19], v20, off offset:-4096
	global_store_dword v[16:17], v21, off offset:1024
	s_waitcnt lgkmcnt(4)
	global_store_dword v[16:17], v22, off offset:2048
	global_store_dword v[16:17], v23, off offset:3072
	s_waitcnt lgkmcnt(3)
	global_store_dword v[18:19], v24, off
	global_store_dword v[18:19], v25, off offset:1024
	s_waitcnt lgkmcnt(2)
	global_store_dword v[18:19], v26, off offset:2048
	global_store_dword v[18:19], v27, off offset:3072
	v_add_co_u32_e32 v16, vcc, 0x3000, v34
	v_addc_co_u32_e32 v17, vcc, 0, v33, vcc
	s_waitcnt lgkmcnt(1)
	global_store_dword v[16:17], v28, off
	global_store_dword v[16:17], v29, off offset:1024
	s_waitcnt lgkmcnt(0)
	global_store_dword v[16:17], v30, off offset:2048
	s_mov_b64 s[6:7], 0
.LBB16_71:
	s_andn2_b64 vcc, exec, s[6:7]
	s_cbranch_vccnz .LBB16_157
; %bb.72:
	ds_write2_b32 v32, v1, v2 offset1:1
	ds_write2_b32 v32, v3, v4 offset0:2 offset1:3
	ds_write2_b32 v32, v5, v6 offset0:4 offset1:5
	;; [unrolled: 1-line block ×6, first 2 shown]
	ds_write_b32 v32, v15 offset:56
	s_waitcnt vmcnt(0) lgkmcnt(0)
	s_barrier
	ds_read2st64_b32 v[4:5], v31 offset1:4
	ds_read2st64_b32 v[8:9], v31 offset0:8 offset1:12
	ds_read2st64_b32 v[6:7], v31 offset0:16 offset1:20
	;; [unrolled: 1-line block ×6, first 2 shown]
	ds_read_b32 v18, v31 offset:14336
	v_mov_b32_e32 v17, s1
	v_add_co_u32_e32 v16, vcc, s0, v31
	v_addc_co_u32_e32 v17, vcc, 0, v17, vcc
	v_mov_b32_e32 v1, 0
	v_cmp_gt_u32_e32 vcc, s23, v0
	s_and_saveexec_b64 s[0:1], vcc
	s_cbranch_execz .LBB16_74
; %bb.73:
	s_waitcnt lgkmcnt(7)
	global_store_dword v[16:17], v4, off
.LBB16_74:
	s_or_b64 exec, exec, s[0:1]
	v_or_b32_e32 v19, 0x100, v0
	v_cmp_gt_u32_e32 vcc, s23, v19
	s_and_saveexec_b64 s[0:1], vcc
	s_cbranch_execz .LBB16_76
; %bb.75:
	s_waitcnt lgkmcnt(7)
	global_store_dword v[16:17], v5, off offset:1024
.LBB16_76:
	s_or_b64 exec, exec, s[0:1]
	v_or_b32_e32 v19, 0x200, v0
	v_cmp_gt_u32_e32 vcc, s23, v19
	s_and_saveexec_b64 s[0:1], vcc
	s_cbranch_execz .LBB16_78
; %bb.77:
	s_waitcnt lgkmcnt(6)
	global_store_dword v[16:17], v8, off offset:2048
.LBB16_78:
	;; [unrolled: 9-line block ×3, first 2 shown]
	s_or_b64 exec, exec, s[0:1]
	v_or_b32_e32 v19, 0x400, v0
	v_cmp_gt_u32_e32 vcc, s23, v19
	s_and_saveexec_b64 s[0:1], vcc
	s_cbranch_execz .LBB16_82
; %bb.81:
	v_add_co_u32_e32 v19, vcc, 0x1000, v16
	v_addc_co_u32_e32 v20, vcc, 0, v17, vcc
	s_waitcnt lgkmcnt(5)
	global_store_dword v[19:20], v6, off
.LBB16_82:
	s_or_b64 exec, exec, s[0:1]
	v_or_b32_e32 v19, 0x500, v0
	v_cmp_gt_u32_e32 vcc, s23, v19
	s_and_saveexec_b64 s[0:1], vcc
	s_cbranch_execz .LBB16_84
; %bb.83:
	v_add_co_u32_e32 v19, vcc, 0x1000, v16
	v_addc_co_u32_e32 v20, vcc, 0, v17, vcc
	s_waitcnt lgkmcnt(5)
	global_store_dword v[19:20], v7, off offset:1024
.LBB16_84:
	s_or_b64 exec, exec, s[0:1]
	v_or_b32_e32 v19, 0x600, v0
	v_cmp_gt_u32_e32 vcc, s23, v19
	s_and_saveexec_b64 s[0:1], vcc
	s_cbranch_execz .LBB16_86
; %bb.85:
	v_add_co_u32_e32 v19, vcc, 0x1000, v16
	v_addc_co_u32_e32 v20, vcc, 0, v17, vcc
	s_waitcnt lgkmcnt(4)
	global_store_dword v[19:20], v14, off offset:2048
.LBB16_86:
	;; [unrolled: 11-line block ×3, first 2 shown]
	s_or_b64 exec, exec, s[0:1]
	v_or_b32_e32 v19, 0x800, v0
	v_cmp_gt_u32_e32 vcc, s23, v19
	s_and_saveexec_b64 s[0:1], vcc
	s_cbranch_execz .LBB16_90
; %bb.89:
	v_add_co_u32_e32 v19, vcc, 0x2000, v16
	v_addc_co_u32_e32 v20, vcc, 0, v17, vcc
	s_waitcnt lgkmcnt(3)
	global_store_dword v[19:20], v10, off
.LBB16_90:
	s_or_b64 exec, exec, s[0:1]
	v_or_b32_e32 v19, 0x900, v0
	v_cmp_gt_u32_e32 vcc, s23, v19
	s_and_saveexec_b64 s[0:1], vcc
	s_cbranch_execz .LBB16_92
; %bb.91:
	v_add_co_u32_e32 v19, vcc, 0x2000, v16
	v_addc_co_u32_e32 v20, vcc, 0, v17, vcc
	s_waitcnt lgkmcnt(3)
	global_store_dword v[19:20], v11, off offset:1024
.LBB16_92:
	s_or_b64 exec, exec, s[0:1]
	v_or_b32_e32 v19, 0xa00, v0
	v_cmp_gt_u32_e32 vcc, s23, v19
	s_and_saveexec_b64 s[0:1], vcc
	s_cbranch_execz .LBB16_94
; %bb.93:
	v_add_co_u32_e32 v19, vcc, 0x2000, v16
	v_addc_co_u32_e32 v20, vcc, 0, v17, vcc
	s_waitcnt lgkmcnt(2)
	global_store_dword v[19:20], v2, off offset:2048
.LBB16_94:
	;; [unrolled: 11-line block ×3, first 2 shown]
	s_or_b64 exec, exec, s[0:1]
	v_or_b32_e32 v19, 0xc00, v0
	v_cmp_gt_u32_e32 vcc, s23, v19
	s_and_saveexec_b64 s[0:1], vcc
	s_cbranch_execz .LBB16_98
; %bb.97:
	v_add_co_u32_e32 v19, vcc, 0x3000, v16
	v_addc_co_u32_e32 v20, vcc, 0, v17, vcc
	s_waitcnt lgkmcnt(1)
	global_store_dword v[19:20], v12, off
.LBB16_98:
	s_or_b64 exec, exec, s[0:1]
	v_or_b32_e32 v19, 0xd00, v0
	v_cmp_gt_u32_e32 vcc, s23, v19
	s_and_saveexec_b64 s[0:1], vcc
	s_cbranch_execz .LBB16_100
; %bb.99:
	v_add_co_u32_e32 v19, vcc, 0x3000, v16
	v_addc_co_u32_e32 v20, vcc, 0, v17, vcc
	s_waitcnt lgkmcnt(1)
	global_store_dword v[19:20], v13, off offset:1024
.LBB16_100:
	s_or_b64 exec, exec, s[0:1]
	v_or_b32_e32 v19, 0xe00, v0
	v_cmp_gt_u32_e32 vcc, s23, v19
	s_and_saveexec_b64 s[0:1], vcc
	s_cbranch_execz .LBB16_102
; %bb.101:
	v_add_co_u32_e32 v16, vcc, 0x3000, v16
	v_addc_co_u32_e32 v17, vcc, 0, v17, vcc
	s_waitcnt lgkmcnt(0)
	global_store_dword v[16:17], v18, off offset:2048
.LBB16_102:
	s_or_b64 exec, exec, s[0:1]
	s_load_dword s0, s[4:5], 0x40
	s_waitcnt lgkmcnt(0)
	s_bfe_u32 s0, s0, 0x10008
	s_cmp_eq_u32 s0, 0
	s_cbranch_scc1 .LBB16_157
; %bb.103:
	s_add_u32 s0, s23, -1
	s_addc_u32 s1, s33, -1
	s_mul_i32 s7, s1, 0x88888889
	s_mul_hi_u32 s8, s0, 0x88888889
	s_mul_hi_u32 s6, s1, 0x88888889
	s_add_u32 s7, s7, s8
	s_mul_i32 s5, s0, 0x88888888
	s_addc_u32 s6, s6, 0
	s_mul_hi_u32 s4, s0, 0x88888888
	s_add_u32 s5, s5, s7
	s_addc_u32 s4, s4, 0
	s_add_u32 s4, s6, s4
	s_addc_u32 s5, 0, 0
	s_mul_i32 s7, s1, 0x88888888
	s_mul_hi_u32 s6, s1, 0x88888888
	s_add_u32 s4, s7, s4
	s_addc_u32 s5, s6, s5
	s_lshr_b64 s[4:5], s[4:5], 3
	v_cmp_eq_u64_e32 vcc, s[4:5], v[0:1]
	s_and_saveexec_b64 s[4:5], vcc
	s_cbranch_execz .LBB16_157
; %bb.104:
	v_mul_hi_u32_u24_e32 v1, 15, v0
	v_mul_u32_u24_e32 v0, 15, v0
	v_mov_b32_e32 v16, s1
	v_sub_co_u32_e32 v0, vcc, s0, v0
	v_subb_co_u32_e32 v1, vcc, v16, v1, vcc
	v_cmp_lt_i64_e32 vcc, 7, v[0:1]
	s_and_saveexec_b64 s[0:1], vcc
	s_xor_b64 s[0:1], exec, s[0:1]
	s_cbranch_execz .LBB16_130
; %bb.105:
	v_cmp_lt_i64_e32 vcc, 10, v[0:1]
	s_and_saveexec_b64 s[4:5], vcc
	s_xor_b64 s[4:5], exec, s[4:5]
	s_cbranch_execz .LBB16_119
; %bb.106:
	;; [unrolled: 5-line block ×4, first 2 shown]
	v_mov_b32_e32 v0, 0
	global_store_dword v0, v18, s[2:3]
                                        ; implicit-def: $vgpr12_vgpr13
.LBB16_109:
	s_andn2_saveexec_b64 s[8:9], s[8:9]
	s_cbranch_execz .LBB16_111
; %bb.110:
	v_mov_b32_e32 v0, 0
	global_store_dword v0, v13, s[2:3]
.LBB16_111:
	s_or_b64 exec, exec, s[8:9]
                                        ; implicit-def: $vgpr2_vgpr3
                                        ; implicit-def: $vgpr0_vgpr1
                                        ; implicit-def: $vgpr12_vgpr13
.LBB16_112:
	s_andn2_saveexec_b64 s[6:7], s[6:7]
	s_cbranch_execz .LBB16_118
; %bb.113:
	v_cmp_lt_i64_e32 vcc, 11, v[0:1]
	s_and_saveexec_b64 s[8:9], vcc
	s_xor_b64 s[8:9], exec, s[8:9]
	s_cbranch_execz .LBB16_115
; %bb.114:
	v_mov_b32_e32 v0, 0
	global_store_dword v0, v12, s[2:3]
                                        ; implicit-def: $vgpr2_vgpr3
.LBB16_115:
	s_andn2_saveexec_b64 s[8:9], s[8:9]
	s_cbranch_execz .LBB16_117
; %bb.116:
	v_mov_b32_e32 v0, 0
	global_store_dword v0, v3, s[2:3]
.LBB16_117:
	s_or_b64 exec, exec, s[8:9]
.LBB16_118:
	s_or_b64 exec, exec, s[6:7]
                                        ; implicit-def: $vgpr10_vgpr11
                                        ; implicit-def: $vgpr0_vgpr1
                                        ; implicit-def: $vgpr2_vgpr3
.LBB16_119:
	s_andn2_saveexec_b64 s[4:5], s[4:5]
	s_cbranch_execz .LBB16_129
; %bb.120:
	v_cmp_lt_i64_e32 vcc, 8, v[0:1]
	s_and_saveexec_b64 s[6:7], vcc
	s_xor_b64 s[6:7], exec, s[6:7]
	s_cbranch_execz .LBB16_126
; %bb.121:
	v_cmp_lt_i64_e32 vcc, 9, v[0:1]
	s_and_saveexec_b64 s[8:9], vcc
	s_xor_b64 s[8:9], exec, s[8:9]
	s_cbranch_execz .LBB16_123
; %bb.122:
	v_mov_b32_e32 v0, 0
	global_store_dword v0, v2, s[2:3]
                                        ; implicit-def: $vgpr10_vgpr11
.LBB16_123:
	s_andn2_saveexec_b64 s[8:9], s[8:9]
	s_cbranch_execz .LBB16_125
; %bb.124:
	v_mov_b32_e32 v0, 0
	global_store_dword v0, v11, s[2:3]
.LBB16_125:
	s_or_b64 exec, exec, s[8:9]
                                        ; implicit-def: $vgpr10_vgpr11
.LBB16_126:
	s_andn2_saveexec_b64 s[6:7], s[6:7]
	s_cbranch_execz .LBB16_128
; %bb.127:
	v_mov_b32_e32 v0, 0
	global_store_dword v0, v10, s[2:3]
.LBB16_128:
	s_or_b64 exec, exec, s[6:7]
.LBB16_129:
	s_or_b64 exec, exec, s[4:5]
                                        ; implicit-def: $vgpr0_vgpr1
                                        ; implicit-def: $vgpr4_vgpr5
                                        ; implicit-def: $vgpr6_vgpr7
                                        ; implicit-def: $vgpr8_vgpr9
                                        ; implicit-def: $vgpr14_vgpr15
.LBB16_130:
	s_andn2_saveexec_b64 s[0:1], s[0:1]
	s_cbranch_execz .LBB16_157
; %bb.131:
	v_cmp_lt_i64_e32 vcc, 3, v[0:1]
	s_and_saveexec_b64 s[0:1], vcc
	s_xor_b64 s[0:1], exec, s[0:1]
	s_cbranch_execz .LBB16_145
; %bb.132:
	v_cmp_lt_i64_e32 vcc, 5, v[0:1]
	s_and_saveexec_b64 s[4:5], vcc
	s_xor_b64 s[4:5], exec, s[4:5]
	;; [unrolled: 5-line block ×3, first 2 shown]
	s_cbranch_execz .LBB16_135
; %bb.134:
	v_mov_b32_e32 v0, 0
	global_store_dword v0, v15, s[2:3]
                                        ; implicit-def: $vgpr14_vgpr15
.LBB16_135:
	s_andn2_saveexec_b64 s[6:7], s[6:7]
	s_cbranch_execz .LBB16_137
; %bb.136:
	v_mov_b32_e32 v0, 0
	global_store_dword v0, v14, s[2:3]
.LBB16_137:
	s_or_b64 exec, exec, s[6:7]
                                        ; implicit-def: $vgpr6_vgpr7
                                        ; implicit-def: $vgpr0_vgpr1
.LBB16_138:
	s_andn2_saveexec_b64 s[4:5], s[4:5]
	s_cbranch_execz .LBB16_144
; %bb.139:
	v_cmp_lt_i64_e32 vcc, 4, v[0:1]
	s_and_saveexec_b64 s[6:7], vcc
	s_xor_b64 s[6:7], exec, s[6:7]
	s_cbranch_execz .LBB16_141
; %bb.140:
	v_mov_b32_e32 v0, 0
	global_store_dword v0, v7, s[2:3]
                                        ; implicit-def: $vgpr6_vgpr7
.LBB16_141:
	s_andn2_saveexec_b64 s[6:7], s[6:7]
	s_cbranch_execz .LBB16_143
; %bb.142:
	v_mov_b32_e32 v0, 0
	global_store_dword v0, v6, s[2:3]
.LBB16_143:
	s_or_b64 exec, exec, s[6:7]
.LBB16_144:
	s_or_b64 exec, exec, s[4:5]
                                        ; implicit-def: $vgpr0_vgpr1
                                        ; implicit-def: $vgpr4_vgpr5
                                        ; implicit-def: $vgpr8_vgpr9
.LBB16_145:
	s_andn2_saveexec_b64 s[0:1], s[0:1]
	s_cbranch_execz .LBB16_157
; %bb.146:
	v_cmp_lt_i64_e32 vcc, 1, v[0:1]
	s_and_saveexec_b64 s[0:1], vcc
	s_xor_b64 s[0:1], exec, s[0:1]
	s_cbranch_execz .LBB16_152
; %bb.147:
	v_cmp_lt_i64_e32 vcc, 2, v[0:1]
	s_and_saveexec_b64 s[4:5], vcc
	s_xor_b64 s[4:5], exec, s[4:5]
	s_cbranch_execz .LBB16_149
; %bb.148:
	v_mov_b32_e32 v0, 0
	global_store_dword v0, v9, s[2:3]
                                        ; implicit-def: $vgpr8_vgpr9
.LBB16_149:
	s_andn2_saveexec_b64 s[4:5], s[4:5]
	s_cbranch_execz .LBB16_151
; %bb.150:
	v_mov_b32_e32 v0, 0
	global_store_dword v0, v8, s[2:3]
.LBB16_151:
	s_or_b64 exec, exec, s[4:5]
                                        ; implicit-def: $vgpr4_vgpr5
                                        ; implicit-def: $vgpr0_vgpr1
.LBB16_152:
	s_andn2_saveexec_b64 s[0:1], s[0:1]
	s_cbranch_execz .LBB16_157
; %bb.153:
	v_cmp_ne_u64_e32 vcc, 1, v[0:1]
	s_and_saveexec_b64 s[0:1], vcc
	s_xor_b64 s[0:1], exec, s[0:1]
	s_cbranch_execz .LBB16_155
; %bb.154:
	v_mov_b32_e32 v0, 0
	global_store_dword v0, v4, s[2:3]
                                        ; implicit-def: $vgpr4_vgpr5
.LBB16_155:
	s_andn2_saveexec_b64 s[0:1], s[0:1]
	s_cbranch_execz .LBB16_157
; %bb.156:
	v_mov_b32_e32 v0, 0
	global_store_dword v0, v5, s[2:3]
.LBB16_157:
	s_endpgm
	.section	.rodata,"a",@progbits
	.p2align	6, 0x0
	.amdhsa_kernel _ZN7rocprim17ROCPRIM_304000_NS6detail20lookback_scan_kernelILNS1_25lookback_scan_determinismE0ELb1ENS1_19wrapped_scan_configINS0_14default_configEiEEPKiPiN2at4cuda3cub12_GLOBAL__N_15SumOpIiEEiiNS1_19lookback_scan_stateIiLb0ELb1EEEEEvT2_T3_mT5_T4_T7_jPT6_SO_bb
		.amdhsa_group_segment_fixed_size 15360
		.amdhsa_private_segment_fixed_size 0
		.amdhsa_kernarg_size 68
		.amdhsa_user_sgpr_count 6
		.amdhsa_user_sgpr_private_segment_buffer 1
		.amdhsa_user_sgpr_dispatch_ptr 0
		.amdhsa_user_sgpr_queue_ptr 0
		.amdhsa_user_sgpr_kernarg_segment_ptr 1
		.amdhsa_user_sgpr_dispatch_id 0
		.amdhsa_user_sgpr_flat_scratch_init 0
		.amdhsa_user_sgpr_private_segment_size 0
		.amdhsa_uses_dynamic_stack 0
		.amdhsa_system_sgpr_private_segment_wavefront_offset 0
		.amdhsa_system_sgpr_workgroup_id_x 1
		.amdhsa_system_sgpr_workgroup_id_y 0
		.amdhsa_system_sgpr_workgroup_id_z 0
		.amdhsa_system_sgpr_workgroup_info 0
		.amdhsa_system_vgpr_workitem_id 0
		.amdhsa_next_free_vgpr 49
		.amdhsa_next_free_sgpr 98
		.amdhsa_reserve_vcc 1
		.amdhsa_reserve_flat_scratch 0
		.amdhsa_float_round_mode_32 0
		.amdhsa_float_round_mode_16_64 0
		.amdhsa_float_denorm_mode_32 3
		.amdhsa_float_denorm_mode_16_64 3
		.amdhsa_dx10_clamp 1
		.amdhsa_ieee_mode 1
		.amdhsa_fp16_overflow 0
		.amdhsa_exception_fp_ieee_invalid_op 0
		.amdhsa_exception_fp_denorm_src 0
		.amdhsa_exception_fp_ieee_div_zero 0
		.amdhsa_exception_fp_ieee_overflow 0
		.amdhsa_exception_fp_ieee_underflow 0
		.amdhsa_exception_fp_ieee_inexact 0
		.amdhsa_exception_int_div_zero 0
	.end_amdhsa_kernel
	.section	.text._ZN7rocprim17ROCPRIM_304000_NS6detail20lookback_scan_kernelILNS1_25lookback_scan_determinismE0ELb1ENS1_19wrapped_scan_configINS0_14default_configEiEEPKiPiN2at4cuda3cub12_GLOBAL__N_15SumOpIiEEiiNS1_19lookback_scan_stateIiLb0ELb1EEEEEvT2_T3_mT5_T4_T7_jPT6_SO_bb,"axG",@progbits,_ZN7rocprim17ROCPRIM_304000_NS6detail20lookback_scan_kernelILNS1_25lookback_scan_determinismE0ELb1ENS1_19wrapped_scan_configINS0_14default_configEiEEPKiPiN2at4cuda3cub12_GLOBAL__N_15SumOpIiEEiiNS1_19lookback_scan_stateIiLb0ELb1EEEEEvT2_T3_mT5_T4_T7_jPT6_SO_bb,comdat
.Lfunc_end16:
	.size	_ZN7rocprim17ROCPRIM_304000_NS6detail20lookback_scan_kernelILNS1_25lookback_scan_determinismE0ELb1ENS1_19wrapped_scan_configINS0_14default_configEiEEPKiPiN2at4cuda3cub12_GLOBAL__N_15SumOpIiEEiiNS1_19lookback_scan_stateIiLb0ELb1EEEEEvT2_T3_mT5_T4_T7_jPT6_SO_bb, .Lfunc_end16-_ZN7rocprim17ROCPRIM_304000_NS6detail20lookback_scan_kernelILNS1_25lookback_scan_determinismE0ELb1ENS1_19wrapped_scan_configINS0_14default_configEiEEPKiPiN2at4cuda3cub12_GLOBAL__N_15SumOpIiEEiiNS1_19lookback_scan_stateIiLb0ELb1EEEEEvT2_T3_mT5_T4_T7_jPT6_SO_bb
                                        ; -- End function
	.set _ZN7rocprim17ROCPRIM_304000_NS6detail20lookback_scan_kernelILNS1_25lookback_scan_determinismE0ELb1ENS1_19wrapped_scan_configINS0_14default_configEiEEPKiPiN2at4cuda3cub12_GLOBAL__N_15SumOpIiEEiiNS1_19lookback_scan_stateIiLb0ELb1EEEEEvT2_T3_mT5_T4_T7_jPT6_SO_bb.num_vgpr, 45
	.set _ZN7rocprim17ROCPRIM_304000_NS6detail20lookback_scan_kernelILNS1_25lookback_scan_determinismE0ELb1ENS1_19wrapped_scan_configINS0_14default_configEiEEPKiPiN2at4cuda3cub12_GLOBAL__N_15SumOpIiEEiiNS1_19lookback_scan_stateIiLb0ELb1EEEEEvT2_T3_mT5_T4_T7_jPT6_SO_bb.num_agpr, 0
	.set _ZN7rocprim17ROCPRIM_304000_NS6detail20lookback_scan_kernelILNS1_25lookback_scan_determinismE0ELb1ENS1_19wrapped_scan_configINS0_14default_configEiEEPKiPiN2at4cuda3cub12_GLOBAL__N_15SumOpIiEEiiNS1_19lookback_scan_stateIiLb0ELb1EEEEEvT2_T3_mT5_T4_T7_jPT6_SO_bb.numbered_sgpr, 34
	.set _ZN7rocprim17ROCPRIM_304000_NS6detail20lookback_scan_kernelILNS1_25lookback_scan_determinismE0ELb1ENS1_19wrapped_scan_configINS0_14default_configEiEEPKiPiN2at4cuda3cub12_GLOBAL__N_15SumOpIiEEiiNS1_19lookback_scan_stateIiLb0ELb1EEEEEvT2_T3_mT5_T4_T7_jPT6_SO_bb.num_named_barrier, 0
	.set _ZN7rocprim17ROCPRIM_304000_NS6detail20lookback_scan_kernelILNS1_25lookback_scan_determinismE0ELb1ENS1_19wrapped_scan_configINS0_14default_configEiEEPKiPiN2at4cuda3cub12_GLOBAL__N_15SumOpIiEEiiNS1_19lookback_scan_stateIiLb0ELb1EEEEEvT2_T3_mT5_T4_T7_jPT6_SO_bb.private_seg_size, 0
	.set _ZN7rocprim17ROCPRIM_304000_NS6detail20lookback_scan_kernelILNS1_25lookback_scan_determinismE0ELb1ENS1_19wrapped_scan_configINS0_14default_configEiEEPKiPiN2at4cuda3cub12_GLOBAL__N_15SumOpIiEEiiNS1_19lookback_scan_stateIiLb0ELb1EEEEEvT2_T3_mT5_T4_T7_jPT6_SO_bb.uses_vcc, 1
	.set _ZN7rocprim17ROCPRIM_304000_NS6detail20lookback_scan_kernelILNS1_25lookback_scan_determinismE0ELb1ENS1_19wrapped_scan_configINS0_14default_configEiEEPKiPiN2at4cuda3cub12_GLOBAL__N_15SumOpIiEEiiNS1_19lookback_scan_stateIiLb0ELb1EEEEEvT2_T3_mT5_T4_T7_jPT6_SO_bb.uses_flat_scratch, 0
	.set _ZN7rocprim17ROCPRIM_304000_NS6detail20lookback_scan_kernelILNS1_25lookback_scan_determinismE0ELb1ENS1_19wrapped_scan_configINS0_14default_configEiEEPKiPiN2at4cuda3cub12_GLOBAL__N_15SumOpIiEEiiNS1_19lookback_scan_stateIiLb0ELb1EEEEEvT2_T3_mT5_T4_T7_jPT6_SO_bb.has_dyn_sized_stack, 0
	.set _ZN7rocprim17ROCPRIM_304000_NS6detail20lookback_scan_kernelILNS1_25lookback_scan_determinismE0ELb1ENS1_19wrapped_scan_configINS0_14default_configEiEEPKiPiN2at4cuda3cub12_GLOBAL__N_15SumOpIiEEiiNS1_19lookback_scan_stateIiLb0ELb1EEEEEvT2_T3_mT5_T4_T7_jPT6_SO_bb.has_recursion, 0
	.set _ZN7rocprim17ROCPRIM_304000_NS6detail20lookback_scan_kernelILNS1_25lookback_scan_determinismE0ELb1ENS1_19wrapped_scan_configINS0_14default_configEiEEPKiPiN2at4cuda3cub12_GLOBAL__N_15SumOpIiEEiiNS1_19lookback_scan_stateIiLb0ELb1EEEEEvT2_T3_mT5_T4_T7_jPT6_SO_bb.has_indirect_call, 0
	.section	.AMDGPU.csdata,"",@progbits
; Kernel info:
; codeLenInByte = 5464
; TotalNumSgprs: 38
; NumVgprs: 45
; ScratchSize: 0
; MemoryBound: 0
; FloatMode: 240
; IeeeMode: 1
; LDSByteSize: 15360 bytes/workgroup (compile time only)
; SGPRBlocks: 12
; VGPRBlocks: 12
; NumSGPRsForWavesPerEU: 102
; NumVGPRsForWavesPerEU: 49
; Occupancy: 4
; WaveLimiterHint : 1
; COMPUTE_PGM_RSRC2:SCRATCH_EN: 0
; COMPUTE_PGM_RSRC2:USER_SGPR: 6
; COMPUTE_PGM_RSRC2:TRAP_HANDLER: 0
; COMPUTE_PGM_RSRC2:TGID_X_EN: 1
; COMPUTE_PGM_RSRC2:TGID_Y_EN: 0
; COMPUTE_PGM_RSRC2:TGID_Z_EN: 0
; COMPUTE_PGM_RSRC2:TIDIG_COMP_CNT: 0
	.section	.text._ZN7rocprim17ROCPRIM_304000_NS6detail18single_scan_kernelILb1ENS1_19wrapped_scan_configINS0_14default_configEiEEPKiPiN2at4cuda3cub12_GLOBAL__N_15SumOpIiEEiiEEvT1_mT4_T2_T3_,"axG",@progbits,_ZN7rocprim17ROCPRIM_304000_NS6detail18single_scan_kernelILb1ENS1_19wrapped_scan_configINS0_14default_configEiEEPKiPiN2at4cuda3cub12_GLOBAL__N_15SumOpIiEEiiEEvT1_mT4_T2_T3_,comdat
	.globl	_ZN7rocprim17ROCPRIM_304000_NS6detail18single_scan_kernelILb1ENS1_19wrapped_scan_configINS0_14default_configEiEEPKiPiN2at4cuda3cub12_GLOBAL__N_15SumOpIiEEiiEEvT1_mT4_T2_T3_ ; -- Begin function _ZN7rocprim17ROCPRIM_304000_NS6detail18single_scan_kernelILb1ENS1_19wrapped_scan_configINS0_14default_configEiEEPKiPiN2at4cuda3cub12_GLOBAL__N_15SumOpIiEEiiEEvT1_mT4_T2_T3_
	.p2align	8
	.type	_ZN7rocprim17ROCPRIM_304000_NS6detail18single_scan_kernelILb1ENS1_19wrapped_scan_configINS0_14default_configEiEEPKiPiN2at4cuda3cub12_GLOBAL__N_15SumOpIiEEiiEEvT1_mT4_T2_T3_,@function
_ZN7rocprim17ROCPRIM_304000_NS6detail18single_scan_kernelILb1ENS1_19wrapped_scan_configINS0_14default_configEiEEPKiPiN2at4cuda3cub12_GLOBAL__N_15SumOpIiEEiiEEvT1_mT4_T2_T3_: ; @_ZN7rocprim17ROCPRIM_304000_NS6detail18single_scan_kernelILb1ENS1_19wrapped_scan_configINS0_14default_configEiEEPKiPiN2at4cuda3cub12_GLOBAL__N_15SumOpIiEEiiEEvT1_mT4_T2_T3_
; %bb.0:
	s_load_dwordx4 s[28:31], s[4:5], 0x0
	v_lshlrev_b32_e32 v19, 2, v0
	s_waitcnt lgkmcnt(0)
	s_load_dword s8, s[28:29], 0x0
	v_mov_b32_e32 v1, s29
	v_add_co_u32_e32 v17, vcc, s28, v19
	v_addc_co_u32_e32 v18, vcc, 0, v1, vcc
	s_waitcnt lgkmcnt(0)
	s_mov_b32 s9, s8
	s_mov_b32 s10, s8
	;; [unrolled: 1-line block ×14, first 2 shown]
	v_mov_b32_e32 v1, s8
	v_cmp_gt_u32_e64 s[0:1], s30, v0
	v_mov_b32_e32 v2, s9
	v_mov_b32_e32 v3, s10
	;; [unrolled: 1-line block ×15, first 2 shown]
	s_and_saveexec_b64 s[2:3], s[0:1]
	s_cbranch_execz .LBB17_2
; %bb.1:
	global_load_dword v1, v[17:18], off
	v_mov_b32_e32 v2, s8
	v_mov_b32_e32 v3, s8
	;; [unrolled: 1-line block ×14, first 2 shown]
.LBB17_2:
	s_or_b64 exec, exec, s[2:3]
	v_or_b32_e32 v16, 0x100, v0
	v_cmp_gt_u32_e64 s[2:3], s30, v16
	s_and_saveexec_b64 s[6:7], s[2:3]
	s_cbranch_execz .LBB17_4
; %bb.3:
	global_load_dword v2, v[17:18], off offset:1024
.LBB17_4:
	s_or_b64 exec, exec, s[6:7]
	v_or_b32_e32 v16, 0x200, v0
	v_cmp_gt_u32_e64 s[6:7], s30, v16
	s_and_saveexec_b64 s[8:9], s[6:7]
	s_cbranch_execz .LBB17_6
; %bb.5:
	global_load_dword v3, v[17:18], off offset:2048
.LBB17_6:
	;; [unrolled: 8-line block ×3, first 2 shown]
	s_or_b64 exec, exec, s[10:11]
	v_or_b32_e32 v16, 0x400, v0
	v_cmp_gt_u32_e64 s[10:11], s30, v16
	s_and_saveexec_b64 s[12:13], s[10:11]
	s_cbranch_execz .LBB17_10
; %bb.9:
	v_add_co_u32_e32 v20, vcc, 0x1000, v17
	v_addc_co_u32_e32 v21, vcc, 0, v18, vcc
	global_load_dword v5, v[20:21], off
.LBB17_10:
	s_or_b64 exec, exec, s[12:13]
	v_or_b32_e32 v16, 0x500, v0
	v_cmp_gt_u32_e64 s[12:13], s30, v16
	s_and_saveexec_b64 s[14:15], s[12:13]
	s_cbranch_execz .LBB17_12
; %bb.11:
	v_add_co_u32_e32 v20, vcc, 0x1000, v17
	v_addc_co_u32_e32 v21, vcc, 0, v18, vcc
	global_load_dword v6, v[20:21], off offset:1024
.LBB17_12:
	s_or_b64 exec, exec, s[14:15]
	v_or_b32_e32 v16, 0x600, v0
	v_cmp_gt_u32_e64 s[14:15], s30, v16
	s_and_saveexec_b64 s[16:17], s[14:15]
	s_cbranch_execz .LBB17_14
; %bb.13:
	v_add_co_u32_e32 v20, vcc, 0x1000, v17
	v_addc_co_u32_e32 v21, vcc, 0, v18, vcc
	global_load_dword v7, v[20:21], off offset:2048
.LBB17_14:
	;; [unrolled: 10-line block ×3, first 2 shown]
	s_or_b64 exec, exec, s[18:19]
	v_or_b32_e32 v16, 0x800, v0
	v_cmp_gt_u32_e64 s[18:19], s30, v16
	s_and_saveexec_b64 s[20:21], s[18:19]
	s_cbranch_execz .LBB17_18
; %bb.17:
	v_add_co_u32_e32 v20, vcc, 0x2000, v17
	v_addc_co_u32_e32 v21, vcc, 0, v18, vcc
	global_load_dword v9, v[20:21], off
.LBB17_18:
	s_or_b64 exec, exec, s[20:21]
	v_or_b32_e32 v16, 0x900, v0
	v_cmp_gt_u32_e64 s[20:21], s30, v16
	s_and_saveexec_b64 s[22:23], s[20:21]
	s_cbranch_execz .LBB17_20
; %bb.19:
	v_add_co_u32_e32 v20, vcc, 0x2000, v17
	v_addc_co_u32_e32 v21, vcc, 0, v18, vcc
	global_load_dword v10, v[20:21], off offset:1024
.LBB17_20:
	s_or_b64 exec, exec, s[22:23]
	v_or_b32_e32 v16, 0xa00, v0
	v_cmp_gt_u32_e64 s[22:23], s30, v16
	s_and_saveexec_b64 s[24:25], s[22:23]
	s_cbranch_execz .LBB17_22
; %bb.21:
	v_add_co_u32_e32 v20, vcc, 0x2000, v17
	v_addc_co_u32_e32 v21, vcc, 0, v18, vcc
	global_load_dword v11, v[20:21], off offset:2048
.LBB17_22:
	;; [unrolled: 10-line block ×3, first 2 shown]
	s_or_b64 exec, exec, s[26:27]
	v_or_b32_e32 v16, 0xc00, v0
	v_cmp_gt_u32_e64 s[26:27], s30, v16
	s_and_saveexec_b64 s[28:29], s[26:27]
	s_cbranch_execz .LBB17_26
; %bb.25:
	v_add_co_u32_e32 v20, vcc, 0x3000, v17
	v_addc_co_u32_e32 v21, vcc, 0, v18, vcc
	global_load_dword v13, v[20:21], off
.LBB17_26:
	s_or_b64 exec, exec, s[28:29]
	v_or_b32_e32 v16, 0xd00, v0
	v_cmp_gt_u32_e64 s[28:29], s30, v16
	s_and_saveexec_b64 s[34:35], s[28:29]
	s_cbranch_execz .LBB17_28
; %bb.27:
	v_add_co_u32_e32 v20, vcc, 0x3000, v17
	v_addc_co_u32_e32 v21, vcc, 0, v18, vcc
	global_load_dword v14, v[20:21], off offset:1024
.LBB17_28:
	s_or_b64 exec, exec, s[34:35]
	v_or_b32_e32 v16, 0xe00, v0
	v_cmp_gt_u32_e64 s[30:31], s30, v16
	s_and_saveexec_b64 s[34:35], s[30:31]
	s_cbranch_execz .LBB17_30
; %bb.29:
	v_add_co_u32_e32 v15, vcc, 0x3000, v17
	v_addc_co_u32_e32 v16, vcc, 0, v18, vcc
	global_load_dword v15, v[15:16], off offset:2048
.LBB17_30:
	s_or_b64 exec, exec, s[34:35]
	s_waitcnt vmcnt(0)
	ds_write2st64_b32 v19, v1, v2 offset1:4
	ds_write2st64_b32 v19, v3, v4 offset0:8 offset1:12
	ds_write2st64_b32 v19, v5, v6 offset0:16 offset1:20
	ds_write2st64_b32 v19, v7, v8 offset0:24 offset1:28
	ds_write2st64_b32 v19, v9, v10 offset0:32 offset1:36
	ds_write2st64_b32 v19, v11, v12 offset0:40 offset1:44
	ds_write2st64_b32 v19, v13, v14 offset0:48 offset1:52
	ds_write_b32 v19, v15 offset:14336
	v_mad_u32_u24 v15, v0, 56, v19
	s_waitcnt lgkmcnt(0)
	s_barrier
	ds_read2_b32 v[13:14], v15 offset1:1
	ds_read2_b32 v[11:12], v15 offset0:2 offset1:3
	ds_read2_b32 v[9:10], v15 offset0:4 offset1:5
	;; [unrolled: 1-line block ×6, first 2 shown]
	ds_read_b32 v15, v15 offset:56
	s_waitcnt lgkmcnt(6)
	v_add3_u32 v16, v14, v13, v11
	s_waitcnt lgkmcnt(5)
	v_add3_u32 v16, v16, v12, v9
	;; [unrolled: 2-line block ×7, first 2 shown]
	v_lshrrev_b32_e32 v16, 3, v0
	v_and_b32_e32 v16, 28, v16
	v_add_u32_e32 v16, v19, v16
	v_cmp_gt_u32_e32 vcc, 64, v0
	s_barrier
	ds_write_b32 v16, v15
	s_waitcnt lgkmcnt(0)
	s_barrier
	s_and_saveexec_b64 s[34:35], vcc
	s_cbranch_execz .LBB17_32
; %bb.31:
	v_lshrrev_b32_e32 v16, 1, v0
	v_and_b32_e32 v16, 0x7c, v16
	v_lshl_add_u32 v18, v0, 4, v16
	ds_read2_b32 v[16:17], v18 offset1:1
	ds_read2_b32 v[20:21], v18 offset0:2 offset1:3
	v_mbcnt_lo_u32_b32 v22, -1, 0
	v_mbcnt_hi_u32_b32 v22, -1, v22
	v_and_b32_e32 v23, 15, v22
	s_waitcnt lgkmcnt(1)
	v_add_u32_e32 v24, v17, v16
	s_waitcnt lgkmcnt(0)
	v_add3_u32 v24, v24, v20, v21
	v_cmp_ne_u32_e32 vcc, 0, v23
	s_nop 0
	v_mov_b32_dpp v25, v24 row_shr:1 row_mask:0xf bank_mask:0xf
	v_cndmask_b32_e32 v25, 0, v25, vcc
	v_add_u32_e32 v24, v25, v24
	v_cmp_lt_u32_e32 vcc, 1, v23
	s_nop 0
	v_mov_b32_dpp v25, v24 row_shr:2 row_mask:0xf bank_mask:0xf
	v_cndmask_b32_e32 v25, 0, v25, vcc
	v_add_u32_e32 v24, v24, v25
	v_cmp_lt_u32_e32 vcc, 3, v23
	;; [unrolled: 5-line block ×3, first 2 shown]
	s_nop 0
	v_mov_b32_dpp v25, v24 row_shr:8 row_mask:0xf bank_mask:0xf
	v_cndmask_b32_e32 v23, 0, v25, vcc
	v_add_u32_e32 v23, v24, v23
	v_bfe_i32 v25, v22, 4, 1
	v_cmp_lt_u32_e32 vcc, 31, v22
	v_mov_b32_dpp v24, v23 row_bcast:15 row_mask:0xf bank_mask:0xf
	v_and_b32_e32 v24, v25, v24
	v_add_u32_e32 v23, v23, v24
	v_and_b32_e32 v25, 64, v22
	s_nop 0
	v_mov_b32_dpp v24, v23 row_bcast:31 row_mask:0xf bank_mask:0xf
	v_cndmask_b32_e32 v24, 0, v24, vcc
	v_add_u32_e32 v23, v23, v24
	v_add_u32_e32 v24, -1, v22
	v_cmp_lt_i32_e32 vcc, v24, v25
	v_cndmask_b32_e32 v22, v24, v22, vcc
	v_lshlrev_b32_e32 v22, 2, v22
	ds_bpermute_b32 v22, v22, v23
	v_cmp_eq_u32_e32 vcc, 0, v0
	s_waitcnt lgkmcnt(0)
	v_add_u32_e32 v16, v22, v16
	v_cndmask_b32_e32 v15, v16, v15, vcc
	v_add_u32_e32 v16, v15, v17
	ds_write2_b32 v18, v15, v16 offset1:1
	v_add_u32_e32 v15, v16, v20
	v_add_u32_e32 v16, v15, v21
	ds_write2_b32 v18, v15, v16 offset0:2 offset1:3
.LBB17_32:
	s_or_b64 exec, exec, s[34:35]
	s_load_dword s33, s[4:5], 0x10
	v_mul_u32_u24_e32 v15, 56, v0
	v_cmp_ne_u32_e32 vcc, 0, v0
	s_waitcnt lgkmcnt(0)
	s_barrier
	v_mov_b32_e32 v16, s33
	s_and_saveexec_b64 s[34:35], vcc
	s_cbranch_execz .LBB17_34
; %bb.33:
	v_add_u32_e32 v0, -1, v0
	v_lshrrev_b32_e32 v16, 3, v0
	v_and_b32_e32 v16, 0x1ffffffc, v16
	v_lshl_add_u32 v0, v0, 2, v16
	ds_read_b32 v0, v0
	s_waitcnt lgkmcnt(0)
	v_add_u32_e32 v16, s33, v0
.LBB17_34:
	s_or_b64 exec, exec, s[34:35]
	v_add_u32_e32 v0, v16, v13
	v_add_u32_e32 v13, v0, v14
	;; [unrolled: 1-line block ×15, first 2 shown]
	s_barrier
	ds_write2_b32 v14, v16, v0 offset1:1
	ds_write2_b32 v14, v13, v11 offset0:2 offset1:3
	ds_write2_b32 v14, v12, v9 offset0:4 offset1:5
	ds_write2_b32 v14, v10, v7 offset0:6 offset1:7
	ds_write2_b32 v14, v8, v5 offset0:8 offset1:9
	ds_write2_b32 v14, v6, v3 offset0:10 offset1:11
	ds_write2_b32 v14, v4, v1 offset0:12 offset1:13
	ds_write_b32 v14, v2 offset:56
	s_waitcnt lgkmcnt(0)
	s_barrier
	ds_read2st64_b32 v[14:15], v19 offset0:4 offset1:8
	ds_read2st64_b32 v[12:13], v19 offset0:12 offset1:16
	;; [unrolled: 1-line block ×7, first 2 shown]
	s_load_dwordx2 s[4:5], s[4:5], 0x18
	s_waitcnt lgkmcnt(0)
	v_mov_b32_e32 v3, s5
	v_add_co_u32_e32 v2, vcc, s4, v19
	v_addc_co_u32_e32 v3, vcc, 0, v3, vcc
	s_and_saveexec_b64 s[4:5], s[0:1]
	s_cbranch_execnz .LBB17_50
; %bb.35:
	s_or_b64 exec, exec, s[4:5]
	s_and_saveexec_b64 s[0:1], s[2:3]
	s_cbranch_execnz .LBB17_51
.LBB17_36:
	s_or_b64 exec, exec, s[0:1]
	s_and_saveexec_b64 s[0:1], s[6:7]
	s_cbranch_execnz .LBB17_52
.LBB17_37:
	s_or_b64 exec, exec, s[0:1]
	s_and_saveexec_b64 s[0:1], s[8:9]
	s_cbranch_execnz .LBB17_53
.LBB17_38:
	s_or_b64 exec, exec, s[0:1]
	s_and_saveexec_b64 s[0:1], s[10:11]
	s_cbranch_execnz .LBB17_54
.LBB17_39:
	s_or_b64 exec, exec, s[0:1]
	s_and_saveexec_b64 s[0:1], s[12:13]
	s_cbranch_execnz .LBB17_55
.LBB17_40:
	s_or_b64 exec, exec, s[0:1]
	s_and_saveexec_b64 s[0:1], s[14:15]
	s_cbranch_execnz .LBB17_56
.LBB17_41:
	s_or_b64 exec, exec, s[0:1]
	s_and_saveexec_b64 s[0:1], s[16:17]
	s_cbranch_execnz .LBB17_57
.LBB17_42:
	s_or_b64 exec, exec, s[0:1]
	s_and_saveexec_b64 s[0:1], s[18:19]
	s_cbranch_execnz .LBB17_58
.LBB17_43:
	s_or_b64 exec, exec, s[0:1]
	s_and_saveexec_b64 s[0:1], s[20:21]
	s_cbranch_execnz .LBB17_59
.LBB17_44:
	s_or_b64 exec, exec, s[0:1]
	s_and_saveexec_b64 s[0:1], s[22:23]
	s_cbranch_execnz .LBB17_60
.LBB17_45:
	s_or_b64 exec, exec, s[0:1]
	s_and_saveexec_b64 s[0:1], s[24:25]
	s_cbranch_execnz .LBB17_61
.LBB17_46:
	s_or_b64 exec, exec, s[0:1]
	s_and_saveexec_b64 s[0:1], s[26:27]
	s_cbranch_execnz .LBB17_62
.LBB17_47:
	s_or_b64 exec, exec, s[0:1]
	s_and_saveexec_b64 s[0:1], s[28:29]
	s_cbranch_execnz .LBB17_63
.LBB17_48:
	s_or_b64 exec, exec, s[0:1]
	s_and_saveexec_b64 s[0:1], s[30:31]
	s_cbranch_execnz .LBB17_64
.LBB17_49:
	s_endpgm
.LBB17_50:
	ds_read_b32 v16, v19
	s_waitcnt lgkmcnt(0)
	global_store_dword v[2:3], v16, off
	s_or_b64 exec, exec, s[4:5]
	s_and_saveexec_b64 s[0:1], s[2:3]
	s_cbranch_execz .LBB17_36
.LBB17_51:
	global_store_dword v[2:3], v14, off offset:1024
	s_or_b64 exec, exec, s[0:1]
	s_and_saveexec_b64 s[0:1], s[6:7]
	s_cbranch_execz .LBB17_37
.LBB17_52:
	global_store_dword v[2:3], v15, off offset:2048
	s_or_b64 exec, exec, s[0:1]
	s_and_saveexec_b64 s[0:1], s[8:9]
	s_cbranch_execz .LBB17_38
.LBB17_53:
	global_store_dword v[2:3], v12, off offset:3072
	s_or_b64 exec, exec, s[0:1]
	s_and_saveexec_b64 s[0:1], s[10:11]
	s_cbranch_execz .LBB17_39
.LBB17_54:
	v_add_co_u32_e32 v14, vcc, 0x1000, v2
	v_addc_co_u32_e32 v15, vcc, 0, v3, vcc
	global_store_dword v[14:15], v13, off
	s_or_b64 exec, exec, s[0:1]
	s_and_saveexec_b64 s[0:1], s[12:13]
	s_cbranch_execz .LBB17_40
.LBB17_55:
	v_add_co_u32_e32 v12, vcc, 0x1000, v2
	v_addc_co_u32_e32 v13, vcc, 0, v3, vcc
	global_store_dword v[12:13], v10, off offset:1024
	s_or_b64 exec, exec, s[0:1]
	s_and_saveexec_b64 s[0:1], s[14:15]
	s_cbranch_execz .LBB17_41
.LBB17_56:
	v_add_co_u32_e32 v12, vcc, 0x1000, v2
	v_addc_co_u32_e32 v13, vcc, 0, v3, vcc
	global_store_dword v[12:13], v11, off offset:2048
	s_or_b64 exec, exec, s[0:1]
	s_and_saveexec_b64 s[0:1], s[16:17]
	s_cbranch_execz .LBB17_42
.LBB17_57:
	v_add_co_u32_e32 v10, vcc, 0x1000, v2
	v_addc_co_u32_e32 v11, vcc, 0, v3, vcc
	global_store_dword v[10:11], v8, off offset:3072
	s_or_b64 exec, exec, s[0:1]
	s_and_saveexec_b64 s[0:1], s[18:19]
	s_cbranch_execz .LBB17_43
.LBB17_58:
	v_add_co_u32_e32 v10, vcc, 0x2000, v2
	v_addc_co_u32_e32 v11, vcc, 0, v3, vcc
	global_store_dword v[10:11], v9, off
	s_or_b64 exec, exec, s[0:1]
	s_and_saveexec_b64 s[0:1], s[20:21]
	s_cbranch_execz .LBB17_44
.LBB17_59:
	v_add_co_u32_e32 v8, vcc, 0x2000, v2
	v_addc_co_u32_e32 v9, vcc, 0, v3, vcc
	global_store_dword v[8:9], v6, off offset:1024
	s_or_b64 exec, exec, s[0:1]
	s_and_saveexec_b64 s[0:1], s[22:23]
	s_cbranch_execz .LBB17_45
.LBB17_60:
	v_add_co_u32_e32 v8, vcc, 0x2000, v2
	v_addc_co_u32_e32 v9, vcc, 0, v3, vcc
	global_store_dword v[8:9], v7, off offset:2048
	s_or_b64 exec, exec, s[0:1]
	s_and_saveexec_b64 s[0:1], s[24:25]
	s_cbranch_execz .LBB17_46
.LBB17_61:
	v_add_co_u32_e32 v6, vcc, 0x2000, v2
	v_addc_co_u32_e32 v7, vcc, 0, v3, vcc
	global_store_dword v[6:7], v4, off offset:3072
	s_or_b64 exec, exec, s[0:1]
	s_and_saveexec_b64 s[0:1], s[26:27]
	s_cbranch_execz .LBB17_47
.LBB17_62:
	v_add_co_u32_e32 v6, vcc, 0x3000, v2
	v_addc_co_u32_e32 v7, vcc, 0, v3, vcc
	global_store_dword v[6:7], v5, off
	s_or_b64 exec, exec, s[0:1]
	s_and_saveexec_b64 s[0:1], s[28:29]
	s_cbranch_execz .LBB17_48
.LBB17_63:
	v_add_co_u32_e32 v4, vcc, 0x3000, v2
	v_addc_co_u32_e32 v5, vcc, 0, v3, vcc
	global_store_dword v[4:5], v0, off offset:1024
	s_or_b64 exec, exec, s[0:1]
	s_and_saveexec_b64 s[0:1], s[30:31]
	s_cbranch_execz .LBB17_49
.LBB17_64:
	v_add_co_u32_e32 v2, vcc, 0x3000, v2
	v_addc_co_u32_e32 v3, vcc, 0, v3, vcc
	global_store_dword v[2:3], v1, off offset:2048
	s_endpgm
	.section	.rodata,"a",@progbits
	.p2align	6, 0x0
	.amdhsa_kernel _ZN7rocprim17ROCPRIM_304000_NS6detail18single_scan_kernelILb1ENS1_19wrapped_scan_configINS0_14default_configEiEEPKiPiN2at4cuda3cub12_GLOBAL__N_15SumOpIiEEiiEEvT1_mT4_T2_T3_
		.amdhsa_group_segment_fixed_size 15360
		.amdhsa_private_segment_fixed_size 0
		.amdhsa_kernarg_size 36
		.amdhsa_user_sgpr_count 6
		.amdhsa_user_sgpr_private_segment_buffer 1
		.amdhsa_user_sgpr_dispatch_ptr 0
		.amdhsa_user_sgpr_queue_ptr 0
		.amdhsa_user_sgpr_kernarg_segment_ptr 1
		.amdhsa_user_sgpr_dispatch_id 0
		.amdhsa_user_sgpr_flat_scratch_init 0
		.amdhsa_user_sgpr_private_segment_size 0
		.amdhsa_uses_dynamic_stack 0
		.amdhsa_system_sgpr_private_segment_wavefront_offset 0
		.amdhsa_system_sgpr_workgroup_id_x 1
		.amdhsa_system_sgpr_workgroup_id_y 0
		.amdhsa_system_sgpr_workgroup_id_z 0
		.amdhsa_system_sgpr_workgroup_info 0
		.amdhsa_system_vgpr_workitem_id 0
		.amdhsa_next_free_vgpr 49
		.amdhsa_next_free_sgpr 98
		.amdhsa_reserve_vcc 1
		.amdhsa_reserve_flat_scratch 0
		.amdhsa_float_round_mode_32 0
		.amdhsa_float_round_mode_16_64 0
		.amdhsa_float_denorm_mode_32 3
		.amdhsa_float_denorm_mode_16_64 3
		.amdhsa_dx10_clamp 1
		.amdhsa_ieee_mode 1
		.amdhsa_fp16_overflow 0
		.amdhsa_exception_fp_ieee_invalid_op 0
		.amdhsa_exception_fp_denorm_src 0
		.amdhsa_exception_fp_ieee_div_zero 0
		.amdhsa_exception_fp_ieee_overflow 0
		.amdhsa_exception_fp_ieee_underflow 0
		.amdhsa_exception_fp_ieee_inexact 0
		.amdhsa_exception_int_div_zero 0
	.end_amdhsa_kernel
	.section	.text._ZN7rocprim17ROCPRIM_304000_NS6detail18single_scan_kernelILb1ENS1_19wrapped_scan_configINS0_14default_configEiEEPKiPiN2at4cuda3cub12_GLOBAL__N_15SumOpIiEEiiEEvT1_mT4_T2_T3_,"axG",@progbits,_ZN7rocprim17ROCPRIM_304000_NS6detail18single_scan_kernelILb1ENS1_19wrapped_scan_configINS0_14default_configEiEEPKiPiN2at4cuda3cub12_GLOBAL__N_15SumOpIiEEiiEEvT1_mT4_T2_T3_,comdat
.Lfunc_end17:
	.size	_ZN7rocprim17ROCPRIM_304000_NS6detail18single_scan_kernelILb1ENS1_19wrapped_scan_configINS0_14default_configEiEEPKiPiN2at4cuda3cub12_GLOBAL__N_15SumOpIiEEiiEEvT1_mT4_T2_T3_, .Lfunc_end17-_ZN7rocprim17ROCPRIM_304000_NS6detail18single_scan_kernelILb1ENS1_19wrapped_scan_configINS0_14default_configEiEEPKiPiN2at4cuda3cub12_GLOBAL__N_15SumOpIiEEiiEEvT1_mT4_T2_T3_
                                        ; -- End function
	.set _ZN7rocprim17ROCPRIM_304000_NS6detail18single_scan_kernelILb1ENS1_19wrapped_scan_configINS0_14default_configEiEEPKiPiN2at4cuda3cub12_GLOBAL__N_15SumOpIiEEiiEEvT1_mT4_T2_T3_.num_vgpr, 26
	.set _ZN7rocprim17ROCPRIM_304000_NS6detail18single_scan_kernelILb1ENS1_19wrapped_scan_configINS0_14default_configEiEEPKiPiN2at4cuda3cub12_GLOBAL__N_15SumOpIiEEiiEEvT1_mT4_T2_T3_.num_agpr, 0
	.set _ZN7rocprim17ROCPRIM_304000_NS6detail18single_scan_kernelILb1ENS1_19wrapped_scan_configINS0_14default_configEiEEPKiPiN2at4cuda3cub12_GLOBAL__N_15SumOpIiEEiiEEvT1_mT4_T2_T3_.numbered_sgpr, 36
	.set _ZN7rocprim17ROCPRIM_304000_NS6detail18single_scan_kernelILb1ENS1_19wrapped_scan_configINS0_14default_configEiEEPKiPiN2at4cuda3cub12_GLOBAL__N_15SumOpIiEEiiEEvT1_mT4_T2_T3_.num_named_barrier, 0
	.set _ZN7rocprim17ROCPRIM_304000_NS6detail18single_scan_kernelILb1ENS1_19wrapped_scan_configINS0_14default_configEiEEPKiPiN2at4cuda3cub12_GLOBAL__N_15SumOpIiEEiiEEvT1_mT4_T2_T3_.private_seg_size, 0
	.set _ZN7rocprim17ROCPRIM_304000_NS6detail18single_scan_kernelILb1ENS1_19wrapped_scan_configINS0_14default_configEiEEPKiPiN2at4cuda3cub12_GLOBAL__N_15SumOpIiEEiiEEvT1_mT4_T2_T3_.uses_vcc, 1
	.set _ZN7rocprim17ROCPRIM_304000_NS6detail18single_scan_kernelILb1ENS1_19wrapped_scan_configINS0_14default_configEiEEPKiPiN2at4cuda3cub12_GLOBAL__N_15SumOpIiEEiiEEvT1_mT4_T2_T3_.uses_flat_scratch, 0
	.set _ZN7rocprim17ROCPRIM_304000_NS6detail18single_scan_kernelILb1ENS1_19wrapped_scan_configINS0_14default_configEiEEPKiPiN2at4cuda3cub12_GLOBAL__N_15SumOpIiEEiiEEvT1_mT4_T2_T3_.has_dyn_sized_stack, 0
	.set _ZN7rocprim17ROCPRIM_304000_NS6detail18single_scan_kernelILb1ENS1_19wrapped_scan_configINS0_14default_configEiEEPKiPiN2at4cuda3cub12_GLOBAL__N_15SumOpIiEEiiEEvT1_mT4_T2_T3_.has_recursion, 0
	.set _ZN7rocprim17ROCPRIM_304000_NS6detail18single_scan_kernelILb1ENS1_19wrapped_scan_configINS0_14default_configEiEEPKiPiN2at4cuda3cub12_GLOBAL__N_15SumOpIiEEiiEEvT1_mT4_T2_T3_.has_indirect_call, 0
	.section	.AMDGPU.csdata,"",@progbits
; Kernel info:
; codeLenInByte = 2364
; TotalNumSgprs: 40
; NumVgprs: 26
; ScratchSize: 0
; MemoryBound: 0
; FloatMode: 240
; IeeeMode: 1
; LDSByteSize: 15360 bytes/workgroup (compile time only)
; SGPRBlocks: 12
; VGPRBlocks: 12
; NumSGPRsForWavesPerEU: 102
; NumVGPRsForWavesPerEU: 49
; Occupancy: 4
; WaveLimiterHint : 0
; COMPUTE_PGM_RSRC2:SCRATCH_EN: 0
; COMPUTE_PGM_RSRC2:USER_SGPR: 6
; COMPUTE_PGM_RSRC2:TRAP_HANDLER: 0
; COMPUTE_PGM_RSRC2:TGID_X_EN: 1
; COMPUTE_PGM_RSRC2:TGID_Y_EN: 0
; COMPUTE_PGM_RSRC2:TGID_Z_EN: 0
; COMPUTE_PGM_RSRC2:TIDIG_COMP_CNT: 0
	.section	.text._ZN7rocprim17ROCPRIM_304000_NS6detail20lookback_scan_kernelILNS1_25lookback_scan_determinismE0ELb1ENS1_19wrapped_scan_configINS0_14default_configElEEPKlPlN2at4cuda3cub12_GLOBAL__N_15SumOpIlEEllNS1_19lookback_scan_stateIlLb1ELb1EEEEEvT2_T3_mT5_T4_T7_jPT6_SO_bb,"axG",@progbits,_ZN7rocprim17ROCPRIM_304000_NS6detail20lookback_scan_kernelILNS1_25lookback_scan_determinismE0ELb1ENS1_19wrapped_scan_configINS0_14default_configElEEPKlPlN2at4cuda3cub12_GLOBAL__N_15SumOpIlEEllNS1_19lookback_scan_stateIlLb1ELb1EEEEEvT2_T3_mT5_T4_T7_jPT6_SO_bb,comdat
	.globl	_ZN7rocprim17ROCPRIM_304000_NS6detail20lookback_scan_kernelILNS1_25lookback_scan_determinismE0ELb1ENS1_19wrapped_scan_configINS0_14default_configElEEPKlPlN2at4cuda3cub12_GLOBAL__N_15SumOpIlEEllNS1_19lookback_scan_stateIlLb1ELb1EEEEEvT2_T3_mT5_T4_T7_jPT6_SO_bb ; -- Begin function _ZN7rocprim17ROCPRIM_304000_NS6detail20lookback_scan_kernelILNS1_25lookback_scan_determinismE0ELb1ENS1_19wrapped_scan_configINS0_14default_configElEEPKlPlN2at4cuda3cub12_GLOBAL__N_15SumOpIlEEllNS1_19lookback_scan_stateIlLb1ELb1EEEEEvT2_T3_mT5_T4_T7_jPT6_SO_bb
	.p2align	8
	.type	_ZN7rocprim17ROCPRIM_304000_NS6detail20lookback_scan_kernelILNS1_25lookback_scan_determinismE0ELb1ENS1_19wrapped_scan_configINS0_14default_configElEEPKlPlN2at4cuda3cub12_GLOBAL__N_15SumOpIlEEllNS1_19lookback_scan_stateIlLb1ELb1EEEEEvT2_T3_mT5_T4_T7_jPT6_SO_bb,@function
_ZN7rocprim17ROCPRIM_304000_NS6detail20lookback_scan_kernelILNS1_25lookback_scan_determinismE0ELb1ENS1_19wrapped_scan_configINS0_14default_configElEEPKlPlN2at4cuda3cub12_GLOBAL__N_15SumOpIlEEllNS1_19lookback_scan_stateIlLb1ELb1EEEEEvT2_T3_mT5_T4_T7_jPT6_SO_bb: ; @_ZN7rocprim17ROCPRIM_304000_NS6detail20lookback_scan_kernelILNS1_25lookback_scan_determinismE0ELb1ENS1_19wrapped_scan_configINS0_14default_configElEEPKlPlN2at4cuda3cub12_GLOBAL__N_15SumOpIlEEllNS1_19lookback_scan_stateIlLb1ELb1EEEEEvT2_T3_mT5_T4_T7_jPT6_SO_bb
; %bb.0:
	s_endpgm
	.section	.rodata,"a",@progbits
	.p2align	6, 0x0
	.amdhsa_kernel _ZN7rocprim17ROCPRIM_304000_NS6detail20lookback_scan_kernelILNS1_25lookback_scan_determinismE0ELb1ENS1_19wrapped_scan_configINS0_14default_configElEEPKlPlN2at4cuda3cub12_GLOBAL__N_15SumOpIlEEllNS1_19lookback_scan_stateIlLb1ELb1EEEEEvT2_T3_mT5_T4_T7_jPT6_SO_bb
		.amdhsa_group_segment_fixed_size 0
		.amdhsa_private_segment_fixed_size 0
		.amdhsa_kernarg_size 76
		.amdhsa_user_sgpr_count 6
		.amdhsa_user_sgpr_private_segment_buffer 1
		.amdhsa_user_sgpr_dispatch_ptr 0
		.amdhsa_user_sgpr_queue_ptr 0
		.amdhsa_user_sgpr_kernarg_segment_ptr 1
		.amdhsa_user_sgpr_dispatch_id 0
		.amdhsa_user_sgpr_flat_scratch_init 0
		.amdhsa_user_sgpr_private_segment_size 0
		.amdhsa_uses_dynamic_stack 0
		.amdhsa_system_sgpr_private_segment_wavefront_offset 0
		.amdhsa_system_sgpr_workgroup_id_x 1
		.amdhsa_system_sgpr_workgroup_id_y 0
		.amdhsa_system_sgpr_workgroup_id_z 0
		.amdhsa_system_sgpr_workgroup_info 0
		.amdhsa_system_vgpr_workitem_id 0
		.amdhsa_next_free_vgpr 1
		.amdhsa_next_free_sgpr 0
		.amdhsa_reserve_vcc 0
		.amdhsa_reserve_flat_scratch 0
		.amdhsa_float_round_mode_32 0
		.amdhsa_float_round_mode_16_64 0
		.amdhsa_float_denorm_mode_32 3
		.amdhsa_float_denorm_mode_16_64 3
		.amdhsa_dx10_clamp 1
		.amdhsa_ieee_mode 1
		.amdhsa_fp16_overflow 0
		.amdhsa_exception_fp_ieee_invalid_op 0
		.amdhsa_exception_fp_denorm_src 0
		.amdhsa_exception_fp_ieee_div_zero 0
		.amdhsa_exception_fp_ieee_overflow 0
		.amdhsa_exception_fp_ieee_underflow 0
		.amdhsa_exception_fp_ieee_inexact 0
		.amdhsa_exception_int_div_zero 0
	.end_amdhsa_kernel
	.section	.text._ZN7rocprim17ROCPRIM_304000_NS6detail20lookback_scan_kernelILNS1_25lookback_scan_determinismE0ELb1ENS1_19wrapped_scan_configINS0_14default_configElEEPKlPlN2at4cuda3cub12_GLOBAL__N_15SumOpIlEEllNS1_19lookback_scan_stateIlLb1ELb1EEEEEvT2_T3_mT5_T4_T7_jPT6_SO_bb,"axG",@progbits,_ZN7rocprim17ROCPRIM_304000_NS6detail20lookback_scan_kernelILNS1_25lookback_scan_determinismE0ELb1ENS1_19wrapped_scan_configINS0_14default_configElEEPKlPlN2at4cuda3cub12_GLOBAL__N_15SumOpIlEEllNS1_19lookback_scan_stateIlLb1ELb1EEEEEvT2_T3_mT5_T4_T7_jPT6_SO_bb,comdat
.Lfunc_end18:
	.size	_ZN7rocprim17ROCPRIM_304000_NS6detail20lookback_scan_kernelILNS1_25lookback_scan_determinismE0ELb1ENS1_19wrapped_scan_configINS0_14default_configElEEPKlPlN2at4cuda3cub12_GLOBAL__N_15SumOpIlEEllNS1_19lookback_scan_stateIlLb1ELb1EEEEEvT2_T3_mT5_T4_T7_jPT6_SO_bb, .Lfunc_end18-_ZN7rocprim17ROCPRIM_304000_NS6detail20lookback_scan_kernelILNS1_25lookback_scan_determinismE0ELb1ENS1_19wrapped_scan_configINS0_14default_configElEEPKlPlN2at4cuda3cub12_GLOBAL__N_15SumOpIlEEllNS1_19lookback_scan_stateIlLb1ELb1EEEEEvT2_T3_mT5_T4_T7_jPT6_SO_bb
                                        ; -- End function
	.set _ZN7rocprim17ROCPRIM_304000_NS6detail20lookback_scan_kernelILNS1_25lookback_scan_determinismE0ELb1ENS1_19wrapped_scan_configINS0_14default_configElEEPKlPlN2at4cuda3cub12_GLOBAL__N_15SumOpIlEEllNS1_19lookback_scan_stateIlLb1ELb1EEEEEvT2_T3_mT5_T4_T7_jPT6_SO_bb.num_vgpr, 0
	.set _ZN7rocprim17ROCPRIM_304000_NS6detail20lookback_scan_kernelILNS1_25lookback_scan_determinismE0ELb1ENS1_19wrapped_scan_configINS0_14default_configElEEPKlPlN2at4cuda3cub12_GLOBAL__N_15SumOpIlEEllNS1_19lookback_scan_stateIlLb1ELb1EEEEEvT2_T3_mT5_T4_T7_jPT6_SO_bb.num_agpr, 0
	.set _ZN7rocprim17ROCPRIM_304000_NS6detail20lookback_scan_kernelILNS1_25lookback_scan_determinismE0ELb1ENS1_19wrapped_scan_configINS0_14default_configElEEPKlPlN2at4cuda3cub12_GLOBAL__N_15SumOpIlEEllNS1_19lookback_scan_stateIlLb1ELb1EEEEEvT2_T3_mT5_T4_T7_jPT6_SO_bb.numbered_sgpr, 0
	.set _ZN7rocprim17ROCPRIM_304000_NS6detail20lookback_scan_kernelILNS1_25lookback_scan_determinismE0ELb1ENS1_19wrapped_scan_configINS0_14default_configElEEPKlPlN2at4cuda3cub12_GLOBAL__N_15SumOpIlEEllNS1_19lookback_scan_stateIlLb1ELb1EEEEEvT2_T3_mT5_T4_T7_jPT6_SO_bb.num_named_barrier, 0
	.set _ZN7rocprim17ROCPRIM_304000_NS6detail20lookback_scan_kernelILNS1_25lookback_scan_determinismE0ELb1ENS1_19wrapped_scan_configINS0_14default_configElEEPKlPlN2at4cuda3cub12_GLOBAL__N_15SumOpIlEEllNS1_19lookback_scan_stateIlLb1ELb1EEEEEvT2_T3_mT5_T4_T7_jPT6_SO_bb.private_seg_size, 0
	.set _ZN7rocprim17ROCPRIM_304000_NS6detail20lookback_scan_kernelILNS1_25lookback_scan_determinismE0ELb1ENS1_19wrapped_scan_configINS0_14default_configElEEPKlPlN2at4cuda3cub12_GLOBAL__N_15SumOpIlEEllNS1_19lookback_scan_stateIlLb1ELb1EEEEEvT2_T3_mT5_T4_T7_jPT6_SO_bb.uses_vcc, 0
	.set _ZN7rocprim17ROCPRIM_304000_NS6detail20lookback_scan_kernelILNS1_25lookback_scan_determinismE0ELb1ENS1_19wrapped_scan_configINS0_14default_configElEEPKlPlN2at4cuda3cub12_GLOBAL__N_15SumOpIlEEllNS1_19lookback_scan_stateIlLb1ELb1EEEEEvT2_T3_mT5_T4_T7_jPT6_SO_bb.uses_flat_scratch, 0
	.set _ZN7rocprim17ROCPRIM_304000_NS6detail20lookback_scan_kernelILNS1_25lookback_scan_determinismE0ELb1ENS1_19wrapped_scan_configINS0_14default_configElEEPKlPlN2at4cuda3cub12_GLOBAL__N_15SumOpIlEEllNS1_19lookback_scan_stateIlLb1ELb1EEEEEvT2_T3_mT5_T4_T7_jPT6_SO_bb.has_dyn_sized_stack, 0
	.set _ZN7rocprim17ROCPRIM_304000_NS6detail20lookback_scan_kernelILNS1_25lookback_scan_determinismE0ELb1ENS1_19wrapped_scan_configINS0_14default_configElEEPKlPlN2at4cuda3cub12_GLOBAL__N_15SumOpIlEEllNS1_19lookback_scan_stateIlLb1ELb1EEEEEvT2_T3_mT5_T4_T7_jPT6_SO_bb.has_recursion, 0
	.set _ZN7rocprim17ROCPRIM_304000_NS6detail20lookback_scan_kernelILNS1_25lookback_scan_determinismE0ELb1ENS1_19wrapped_scan_configINS0_14default_configElEEPKlPlN2at4cuda3cub12_GLOBAL__N_15SumOpIlEEllNS1_19lookback_scan_stateIlLb1ELb1EEEEEvT2_T3_mT5_T4_T7_jPT6_SO_bb.has_indirect_call, 0
	.section	.AMDGPU.csdata,"",@progbits
; Kernel info:
; codeLenInByte = 4
; TotalNumSgprs: 4
; NumVgprs: 0
; ScratchSize: 0
; MemoryBound: 0
; FloatMode: 240
; IeeeMode: 1
; LDSByteSize: 0 bytes/workgroup (compile time only)
; SGPRBlocks: 0
; VGPRBlocks: 0
; NumSGPRsForWavesPerEU: 4
; NumVGPRsForWavesPerEU: 1
; Occupancy: 10
; WaveLimiterHint : 0
; COMPUTE_PGM_RSRC2:SCRATCH_EN: 0
; COMPUTE_PGM_RSRC2:USER_SGPR: 6
; COMPUTE_PGM_RSRC2:TRAP_HANDLER: 0
; COMPUTE_PGM_RSRC2:TGID_X_EN: 1
; COMPUTE_PGM_RSRC2:TGID_Y_EN: 0
; COMPUTE_PGM_RSRC2:TGID_Z_EN: 0
; COMPUTE_PGM_RSRC2:TIDIG_COMP_CNT: 0
	.section	.text._ZN7rocprim17ROCPRIM_304000_NS6detail20lookback_scan_kernelILNS1_25lookback_scan_determinismE0ELb1ENS1_19wrapped_scan_configINS0_14default_configElEEPKlPlN2at4cuda3cub12_GLOBAL__N_15SumOpIlEEllNS1_19lookback_scan_stateIlLb0ELb1EEEEEvT2_T3_mT5_T4_T7_jPT6_SO_bb,"axG",@progbits,_ZN7rocprim17ROCPRIM_304000_NS6detail20lookback_scan_kernelILNS1_25lookback_scan_determinismE0ELb1ENS1_19wrapped_scan_configINS0_14default_configElEEPKlPlN2at4cuda3cub12_GLOBAL__N_15SumOpIlEEllNS1_19lookback_scan_stateIlLb0ELb1EEEEEvT2_T3_mT5_T4_T7_jPT6_SO_bb,comdat
	.globl	_ZN7rocprim17ROCPRIM_304000_NS6detail20lookback_scan_kernelILNS1_25lookback_scan_determinismE0ELb1ENS1_19wrapped_scan_configINS0_14default_configElEEPKlPlN2at4cuda3cub12_GLOBAL__N_15SumOpIlEEllNS1_19lookback_scan_stateIlLb0ELb1EEEEEvT2_T3_mT5_T4_T7_jPT6_SO_bb ; -- Begin function _ZN7rocprim17ROCPRIM_304000_NS6detail20lookback_scan_kernelILNS1_25lookback_scan_determinismE0ELb1ENS1_19wrapped_scan_configINS0_14default_configElEEPKlPlN2at4cuda3cub12_GLOBAL__N_15SumOpIlEEllNS1_19lookback_scan_stateIlLb0ELb1EEEEEvT2_T3_mT5_T4_T7_jPT6_SO_bb
	.p2align	8
	.type	_ZN7rocprim17ROCPRIM_304000_NS6detail20lookback_scan_kernelILNS1_25lookback_scan_determinismE0ELb1ENS1_19wrapped_scan_configINS0_14default_configElEEPKlPlN2at4cuda3cub12_GLOBAL__N_15SumOpIlEEllNS1_19lookback_scan_stateIlLb0ELb1EEEEEvT2_T3_mT5_T4_T7_jPT6_SO_bb,@function
_ZN7rocprim17ROCPRIM_304000_NS6detail20lookback_scan_kernelILNS1_25lookback_scan_determinismE0ELb1ENS1_19wrapped_scan_configINS0_14default_configElEEPKlPlN2at4cuda3cub12_GLOBAL__N_15SumOpIlEEllNS1_19lookback_scan_stateIlLb0ELb1EEEEEvT2_T3_mT5_T4_T7_jPT6_SO_bb: ; @_ZN7rocprim17ROCPRIM_304000_NS6detail20lookback_scan_kernelILNS1_25lookback_scan_determinismE0ELb1ENS1_19wrapped_scan_configINS0_14default_configElEEPKlPlN2at4cuda3cub12_GLOBAL__N_15SumOpIlEEllNS1_19lookback_scan_stateIlLb0ELb1EEEEEvT2_T3_mT5_T4_T7_jPT6_SO_bb
; %bb.0:
	s_load_dword s1, s[4:5], 0x30
	s_load_dwordx8 s[8:15], s[4:5], 0x0
	s_mul_i32 s0, s6, 0x380
	v_lshlrev_b32_e32 v43, 3, v0
	s_waitcnt lgkmcnt(0)
	s_add_i32 s2, s1, -1
	s_mul_i32 s3, s2, 0x380
	s_sub_u32 s22, s12, s3
	s_subb_u32 s23, s13, 0
	s_mov_b32 s1, 0
	s_cmp_lg_u32 s6, s2
	s_cselect_b64 s[12:13], -1, 0
	s_lshl_b64 s[16:17], s[0:1], 3
	s_add_u32 s18, s8, s16
	s_addc_u32 s19, s9, s17
	s_mov_b64 s[0:1], -1
	s_and_b64 vcc, exec, s[12:13]
	s_cbranch_vccz .LBB19_2
; %bb.1:
	v_mov_b32_e32 v1, s19
	v_add_co_u32_e32 v17, vcc, s18, v43
	v_addc_co_u32_e32 v18, vcc, 0, v1, vcc
	v_add_co_u32_e32 v17, vcc, 0x1000, v17
	v_addc_co_u32_e32 v18, vcc, 0, v18, vcc
	global_load_dwordx2 v[1:2], v43, s[18:19]
	global_load_dwordx2 v[3:4], v43, s[18:19] offset:512
	global_load_dwordx2 v[5:6], v43, s[18:19] offset:1024
	;; [unrolled: 1-line block ×7, first 2 shown]
	global_load_dwordx2 v[19:20], v[17:18], off
	global_load_dwordx2 v[21:22], v[17:18], off offset:512
	global_load_dwordx2 v[23:24], v[17:18], off offset:1024
	;; [unrolled: 1-line block ×5, first 2 shown]
	s_mov_b64 s[0:1], 0
	s_waitcnt vmcnt(12)
	ds_write2st64_b64 v43, v[1:2], v[3:4] offset1:1
	s_waitcnt vmcnt(10)
	ds_write2st64_b64 v43, v[5:6], v[7:8] offset0:2 offset1:3
	s_waitcnt vmcnt(8)
	ds_write2st64_b64 v43, v[9:10], v[11:12] offset0:4 offset1:5
	;; [unrolled: 2-line block ×6, first 2 shown]
	s_waitcnt lgkmcnt(0)
	; wave barrier
.LBB19_2:
	s_andn2_b64 vcc, exec, s[0:1]
	v_cmp_gt_u32_e64 s[0:1], s22, v0
	s_cbranch_vccnz .LBB19_32
; %bb.3:
	s_load_dwordx2 s[2:3], s[18:19], 0x0
	v_mov_b32_e32 v1, s19
	v_add_co_u32_e32 v3, vcc, s18, v43
	v_addc_co_u32_e32 v4, vcc, 0, v1, vcc
	s_waitcnt lgkmcnt(0)
	v_mov_b32_e32 v1, s2
	v_mov_b32_e32 v2, s3
	s_and_saveexec_b64 s[18:19], s[0:1]
	s_cbranch_execz .LBB19_5
; %bb.4:
	global_load_dwordx2 v[1:2], v[3:4], off
.LBB19_5:
	s_or_b64 exec, exec, s[18:19]
	v_or_b32_e32 v5, 64, v0
	v_cmp_gt_u32_e32 vcc, s22, v5
	v_mov_b32_e32 v6, s3
	v_mov_b32_e32 v5, s2
	s_and_saveexec_b64 s[0:1], vcc
	s_cbranch_execz .LBB19_7
; %bb.6:
	global_load_dwordx2 v[5:6], v[3:4], off offset:512
.LBB19_7:
	s_or_b64 exec, exec, s[0:1]
	v_or_b32_e32 v7, 0x80, v0
	v_cmp_gt_u32_e32 vcc, s22, v7
	v_mov_b32_e32 v8, s3
	v_mov_b32_e32 v7, s2
	s_and_saveexec_b64 s[0:1], vcc
	s_cbranch_execz .LBB19_9
; %bb.8:
	global_load_dwordx2 v[7:8], v[3:4], off offset:1024
.LBB19_9:
	;; [unrolled: 10-line block ×7, first 2 shown]
	s_or_b64 exec, exec, s[0:1]
	v_or_b32_e32 v19, 0x200, v0
	v_cmp_gt_u32_e32 vcc, s22, v19
	v_mov_b32_e32 v20, s3
	v_mov_b32_e32 v19, s2
	s_and_saveexec_b64 s[0:1], vcc
	s_cbranch_execz .LBB19_21
; %bb.20:
	v_add_co_u32_e32 v19, vcc, 0x1000, v3
	v_addc_co_u32_e32 v20, vcc, 0, v4, vcc
	global_load_dwordx2 v[19:20], v[19:20], off
.LBB19_21:
	s_or_b64 exec, exec, s[0:1]
	v_or_b32_e32 v21, 0x240, v0
	v_cmp_gt_u32_e32 vcc, s22, v21
	v_mov_b32_e32 v22, s3
	v_mov_b32_e32 v21, s2
	s_and_saveexec_b64 s[0:1], vcc
	s_cbranch_execz .LBB19_23
; %bb.22:
	v_add_co_u32_e32 v21, vcc, 0x1000, v3
	v_addc_co_u32_e32 v22, vcc, 0, v4, vcc
	global_load_dwordx2 v[21:22], v[21:22], off offset:512
.LBB19_23:
	s_or_b64 exec, exec, s[0:1]
	v_or_b32_e32 v23, 0x280, v0
	v_cmp_gt_u32_e32 vcc, s22, v23
	v_mov_b32_e32 v24, s3
	v_mov_b32_e32 v23, s2
	s_and_saveexec_b64 s[0:1], vcc
	s_cbranch_execz .LBB19_25
; %bb.24:
	v_add_co_u32_e32 v23, vcc, 0x1000, v3
	v_addc_co_u32_e32 v24, vcc, 0, v4, vcc
	global_load_dwordx2 v[23:24], v[23:24], off offset:1024
.LBB19_25:
	;; [unrolled: 12-line block ×5, first 2 shown]
	s_or_b64 exec, exec, s[0:1]
	s_waitcnt vmcnt(0)
	ds_write2st64_b64 v43, v[1:2], v[5:6] offset1:1
	ds_write2st64_b64 v43, v[7:8], v[9:10] offset0:2 offset1:3
	ds_write2st64_b64 v43, v[11:12], v[13:14] offset0:4 offset1:5
	;; [unrolled: 1-line block ×6, first 2 shown]
	s_waitcnt lgkmcnt(0)
	; wave barrier
.LBB19_32:
	v_mul_u32_u24_e32 v44, 0x70, v0
	ds_read_b128 v[25:28], v44
	ds_read_b128 v[21:24], v44 offset:16
	ds_read_b128 v[17:20], v44 offset:32
	;; [unrolled: 1-line block ×6, first 2 shown]
	s_load_dwordx2 s[18:19], s[4:5], 0x28
	s_cmp_lg_u32 s6, 0
	v_mbcnt_lo_u32_b32 v45, -1, 0
	s_waitcnt lgkmcnt(0)
	; wave barrier
	s_cbranch_scc0 .LBB19_86
; %bb.33:
	v_add_co_u32_e32 v29, vcc, v27, v25
	v_addc_co_u32_e32 v30, vcc, v28, v26, vcc
	v_add_co_u32_e32 v29, vcc, v29, v21
	v_addc_co_u32_e32 v30, vcc, v30, v22, vcc
	;; [unrolled: 2-line block ×13, first 2 shown]
	v_mbcnt_hi_u32_b32 v40, -1, v45
	v_and_b32_e32 v33, 15, v40
	v_mov_b32_e32 v32, v30
	v_mov_b32_dpp v35, v29 row_shr:1 row_mask:0xf bank_mask:0xf
	v_mov_b32_dpp v34, v30 row_shr:1 row_mask:0xf bank_mask:0xf
	v_cmp_ne_u32_e32 vcc, 0, v33
	v_mov_b32_e32 v31, v29
	s_and_saveexec_b64 s[0:1], vcc
; %bb.34:
	v_add_co_u32_e32 v29, vcc, v29, v35
	v_addc_co_u32_e32 v30, vcc, 0, v30, vcc
	v_add_co_u32_e32 v31, vcc, 0, v29
	v_addc_co_u32_e32 v32, vcc, v34, v30, vcc
	v_mov_b32_e32 v30, v32
; %bb.35:
	s_or_b64 exec, exec, s[0:1]
	v_mov_b32_dpp v35, v29 row_shr:2 row_mask:0xf bank_mask:0xf
	v_mov_b32_dpp v34, v30 row_shr:2 row_mask:0xf bank_mask:0xf
	v_cmp_lt_u32_e32 vcc, 1, v33
	s_and_saveexec_b64 s[0:1], vcc
; %bb.36:
	v_add_co_u32_e32 v29, vcc, v31, v35
	v_addc_co_u32_e32 v30, vcc, 0, v32, vcc
	v_add_co_u32_e32 v31, vcc, 0, v29
	v_addc_co_u32_e32 v32, vcc, v34, v30, vcc
	v_mov_b32_e32 v30, v32
; %bb.37:
	s_or_b64 exec, exec, s[0:1]
	v_mov_b32_dpp v35, v29 row_shr:4 row_mask:0xf bank_mask:0xf
	v_mov_b32_dpp v34, v30 row_shr:4 row_mask:0xf bank_mask:0xf
	v_cmp_lt_u32_e32 vcc, 3, v33
	;; [unrolled: 12-line block ×3, first 2 shown]
	s_and_saveexec_b64 s[0:1], vcc
; %bb.40:
	v_add_co_u32_e32 v29, vcc, v31, v35
	v_addc_co_u32_e32 v30, vcc, 0, v32, vcc
	v_add_co_u32_e32 v31, vcc, 0, v29
	v_addc_co_u32_e32 v32, vcc, v34, v30, vcc
	v_mov_b32_e32 v30, v32
; %bb.41:
	s_or_b64 exec, exec, s[0:1]
	v_and_b32_e32 v35, 16, v40
	v_mov_b32_dpp v34, v29 row_bcast:15 row_mask:0xf bank_mask:0xf
	v_mov_b32_dpp v33, v30 row_bcast:15 row_mask:0xf bank_mask:0xf
	v_cmp_ne_u32_e32 vcc, 0, v35
	s_and_saveexec_b64 s[0:1], vcc
; %bb.42:
	v_add_co_u32_e32 v29, vcc, v31, v34
	v_addc_co_u32_e32 v30, vcc, 0, v32, vcc
	v_add_co_u32_e32 v31, vcc, 0, v29
	v_addc_co_u32_e32 v32, vcc, v33, v30, vcc
	v_mov_b32_e32 v30, v32
; %bb.43:
	s_or_b64 exec, exec, s[0:1]
	v_mov_b32_dpp v34, v29 row_bcast:31 row_mask:0xf bank_mask:0xf
	v_mov_b32_dpp v33, v30 row_bcast:31 row_mask:0xf bank_mask:0xf
	v_cmp_lt_u32_e32 vcc, 31, v40
	s_and_saveexec_b64 s[0:1], vcc
; %bb.44:
	v_add_co_u32_e32 v29, vcc, v31, v34
	v_addc_co_u32_e32 v30, vcc, 0, v32, vcc
	v_add_co_u32_e32 v31, vcc, 0, v29
	v_addc_co_u32_e32 v32, vcc, v33, v30, vcc
	v_mov_b32_e32 v30, v32
; %bb.45:
	s_or_b64 exec, exec, s[0:1]
	v_cmp_eq_u32_e32 vcc, 63, v0
	s_and_saveexec_b64 s[0:1], vcc
; %bb.46:
	v_mov_b32_e32 v33, 0
	ds_write_b64 v33, v[31:32]
; %bb.47:
	s_or_b64 exec, exec, s[0:1]
	v_subrev_co_u32_e64 v31, s[0:1], 1, v40
	v_and_b32_e32 v32, 64, v40
	v_cmp_lt_i32_e32 vcc, v31, v32
	v_cndmask_b32_e32 v31, v31, v40, vcc
	v_lshlrev_b32_e32 v31, 2, v31
	v_mov_b32_e32 v32, 0
	s_waitcnt lgkmcnt(0)
	; wave barrier
	ds_bpermute_b32 v46, v31, v29
	ds_bpermute_b32 v47, v31, v30
	ds_read_b64 v[29:30], v32
	s_and_saveexec_b64 s[2:3], s[0:1]
	s_cbranch_execz .LBB19_49
; %bb.48:
	s_add_i32 s20, s6, 64
	s_mov_b32 s21, 0
	s_lshl_b64 s[20:21], s[20:21], 4
	s_add_u32 s20, s18, s20
	s_addc_u32 s21, s19, s21
	v_mov_b32_e32 v34, s21
	v_mov_b32_e32 v31, 1
	v_mov_b32_e32 v33, s20
	s_waitcnt lgkmcnt(0)
	;;#ASMSTART
	global_store_dwordx4 v[33:34], v[29:32] off	
s_waitcnt vmcnt(0)
	;;#ASMEND
.LBB19_49:
	s_or_b64 exec, exec, s[2:3]
	v_xad_u32 v37, v40, -1, s6
	v_add_u32_e32 v31, 64, v37
	v_lshlrev_b64 v[33:34], 4, v[31:32]
	v_mov_b32_e32 v31, s19
	v_add_co_u32_e32 v38, vcc, s18, v33
	v_addc_co_u32_e32 v39, vcc, v31, v34, vcc
	;;#ASMSTART
	global_load_dwordx4 v[33:36], v[38:39] off glc	
s_waitcnt vmcnt(0)
	;;#ASMEND
	v_cmp_eq_u16_sdwa s[20:21], v35, v32 src0_sel:BYTE_0 src1_sel:DWORD
	s_and_saveexec_b64 s[2:3], s[20:21]
	s_cbranch_execz .LBB19_53
; %bb.50:
	s_mov_b64 s[20:21], 0
	v_mov_b32_e32 v31, 0
.LBB19_51:                              ; =>This Inner Loop Header: Depth=1
	;;#ASMSTART
	global_load_dwordx4 v[33:36], v[38:39] off glc	
s_waitcnt vmcnt(0)
	;;#ASMEND
	v_cmp_ne_u16_sdwa s[24:25], v35, v31 src0_sel:BYTE_0 src1_sel:DWORD
	s_or_b64 s[20:21], s[24:25], s[20:21]
	s_andn2_b64 exec, exec, s[20:21]
	s_cbranch_execnz .LBB19_51
; %bb.52:
	s_or_b64 exec, exec, s[20:21]
.LBB19_53:
	s_or_b64 exec, exec, s[2:3]
	v_and_b32_e32 v39, 63, v40
	v_mov_b32_e32 v36, 2
	v_lshlrev_b64 v[31:32], v40, -1
	v_cmp_ne_u32_e32 vcc, 63, v39
	v_cmp_eq_u16_sdwa s[2:3], v35, v36 src0_sel:BYTE_0 src1_sel:DWORD
	v_addc_co_u32_e32 v41, vcc, 0, v40, vcc
	v_and_b32_e32 v36, s3, v32
	v_lshlrev_b32_e32 v48, 2, v41
	v_or_b32_e32 v36, 0x80000000, v36
	ds_bpermute_b32 v42, v48, v33
	ds_bpermute_b32 v41, v48, v34
	v_and_b32_e32 v38, s2, v31
	v_ffbl_b32_e32 v36, v36
	v_add_u32_e32 v36, 32, v36
	v_ffbl_b32_e32 v38, v38
	v_min_u32_e32 v36, v38, v36
	v_add_u32_e32 v49, 1, v40
	v_cmp_le_u32_e32 vcc, v49, v36
	v_mov_b32_e32 v38, v33
	s_and_saveexec_b64 s[2:3], vcc
	s_cbranch_execz .LBB19_55
; %bb.54:
	s_waitcnt lgkmcnt(1)
	v_add_co_u32_e32 v38, vcc, v33, v42
	v_addc_co_u32_e32 v34, vcc, 0, v34, vcc
	v_add_co_u32_e32 v33, vcc, 0, v38
	s_waitcnt lgkmcnt(0)
	v_addc_co_u32_e32 v34, vcc, v41, v34, vcc
.LBB19_55:
	s_or_b64 exec, exec, s[2:3]
	v_cmp_gt_u32_e32 vcc, 62, v39
	s_waitcnt lgkmcnt(0)
	v_cndmask_b32_e64 v41, 0, 2, vcc
	v_add_lshl_u32 v50, v41, v40, 2
	ds_bpermute_b32 v42, v50, v38
	ds_bpermute_b32 v41, v50, v34
	v_add_u32_e32 v51, 2, v40
	v_cmp_le_u32_e32 vcc, v51, v36
	s_and_saveexec_b64 s[2:3], vcc
	s_cbranch_execz .LBB19_57
; %bb.56:
	s_waitcnt lgkmcnt(1)
	v_add_co_u32_e32 v38, vcc, v33, v42
	v_addc_co_u32_e32 v34, vcc, 0, v34, vcc
	v_add_co_u32_e32 v33, vcc, 0, v38
	s_waitcnt lgkmcnt(0)
	v_addc_co_u32_e32 v34, vcc, v41, v34, vcc
.LBB19_57:
	s_or_b64 exec, exec, s[2:3]
	v_cmp_gt_u32_e32 vcc, 60, v39
	s_waitcnt lgkmcnt(0)
	v_cndmask_b32_e64 v41, 0, 4, vcc
	v_add_lshl_u32 v52, v41, v40, 2
	ds_bpermute_b32 v42, v52, v38
	ds_bpermute_b32 v41, v52, v34
	v_add_u32_e32 v53, 4, v40
	v_cmp_le_u32_e32 vcc, v53, v36
	s_and_saveexec_b64 s[2:3], vcc
	s_cbranch_execz .LBB19_59
; %bb.58:
	s_waitcnt lgkmcnt(1)
	v_add_co_u32_e32 v38, vcc, v33, v42
	v_addc_co_u32_e32 v34, vcc, 0, v34, vcc
	v_add_co_u32_e32 v33, vcc, 0, v38
	s_waitcnt lgkmcnt(0)
	v_addc_co_u32_e32 v34, vcc, v41, v34, vcc
.LBB19_59:
	s_or_b64 exec, exec, s[2:3]
	v_cmp_gt_u32_e32 vcc, 56, v39
	s_waitcnt lgkmcnt(0)
	v_cndmask_b32_e64 v41, 0, 8, vcc
	v_add_lshl_u32 v54, v41, v40, 2
	ds_bpermute_b32 v42, v54, v38
	ds_bpermute_b32 v41, v54, v34
	v_add_u32_e32 v55, 8, v40
	v_cmp_le_u32_e32 vcc, v55, v36
	s_and_saveexec_b64 s[2:3], vcc
	s_cbranch_execz .LBB19_61
; %bb.60:
	s_waitcnt lgkmcnt(1)
	v_add_co_u32_e32 v38, vcc, v33, v42
	v_addc_co_u32_e32 v34, vcc, 0, v34, vcc
	v_add_co_u32_e32 v33, vcc, 0, v38
	s_waitcnt lgkmcnt(0)
	v_addc_co_u32_e32 v34, vcc, v41, v34, vcc
.LBB19_61:
	s_or_b64 exec, exec, s[2:3]
	v_cmp_gt_u32_e32 vcc, 48, v39
	v_cndmask_b32_e64 v39, 0, 16, vcc
	v_add_lshl_u32 v56, v39, v40, 2
	s_waitcnt lgkmcnt(0)
	ds_bpermute_b32 v41, v56, v38
	ds_bpermute_b32 v39, v56, v34
	v_add_u32_e32 v57, 16, v40
	v_cmp_le_u32_e32 vcc, v57, v36
	s_and_saveexec_b64 s[2:3], vcc
	s_cbranch_execz .LBB19_63
; %bb.62:
	s_waitcnt lgkmcnt(1)
	v_add_co_u32_e32 v38, vcc, v33, v41
	v_addc_co_u32_e32 v34, vcc, 0, v34, vcc
	v_add_co_u32_e32 v33, vcc, 0, v38
	s_waitcnt lgkmcnt(0)
	v_addc_co_u32_e32 v34, vcc, v39, v34, vcc
.LBB19_63:
	s_or_b64 exec, exec, s[2:3]
	s_waitcnt lgkmcnt(0)
	v_mov_b32_e32 v39, 0x80
	v_lshl_or_b32 v58, v40, 2, v39
	ds_bpermute_b32 v39, v58, v38
	v_add_u32_e32 v59, 32, v40
	ds_bpermute_b32 v40, v58, v34
	v_mov_b32_e32 v38, 0
	v_mov_b32_e32 v60, 2
	s_waitcnt lgkmcnt(1)
	v_add_co_u32_e32 v39, vcc, v33, v39
	v_addc_co_u32_e32 v41, vcc, 0, v34, vcc
	v_add_co_u32_e32 v39, vcc, 0, v39
	s_waitcnt lgkmcnt(0)
	v_addc_co_u32_e32 v40, vcc, v41, v40, vcc
	v_cmp_gt_u32_e32 vcc, v59, v36
	v_cndmask_b32_e32 v34, v40, v34, vcc
	v_cndmask_b32_e32 v33, v39, v33, vcc
	s_branch .LBB19_66
.LBB19_64:                              ;   in Loop: Header=BB19_66 Depth=1
	s_or_b64 exec, exec, s[2:3]
	ds_bpermute_b32 v41, v58, v41
	s_waitcnt lgkmcnt(1)
	ds_bpermute_b32 v42, v58, v34
	v_subrev_u32_e32 v37, 64, v37
	s_mov_b64 s[2:3], 0
	s_waitcnt lgkmcnt(1)
	v_add_co_u32_e32 v41, vcc, v33, v41
	v_addc_co_u32_e32 v61, vcc, 0, v34, vcc
	v_add_co_u32_e32 v41, vcc, 0, v41
	s_waitcnt lgkmcnt(0)
	v_addc_co_u32_e32 v42, vcc, v61, v42, vcc
	v_cmp_gt_u32_e32 vcc, v59, v36
	v_cndmask_b32_e32 v33, v41, v33, vcc
	v_cndmask_b32_e32 v34, v42, v34, vcc
	v_add_co_u32_e32 v33, vcc, v33, v39
	v_addc_co_u32_e32 v34, vcc, v34, v40, vcc
.LBB19_65:                              ;   in Loop: Header=BB19_66 Depth=1
	s_and_b64 vcc, exec, s[2:3]
	s_cbranch_vccnz .LBB19_81
.LBB19_66:                              ; =>This Loop Header: Depth=1
                                        ;     Child Loop BB19_69 Depth 2
	v_mov_b32_e32 v40, v34
	v_cmp_ne_u16_sdwa s[2:3], v35, v60 src0_sel:BYTE_0 src1_sel:DWORD
	v_mov_b32_e32 v39, v33
	s_cmp_lg_u64 s[2:3], exec
	s_mov_b64 s[2:3], -1
                                        ; implicit-def: $vgpr33_vgpr34
                                        ; implicit-def: $vgpr35
	s_cbranch_scc1 .LBB19_65
; %bb.67:                               ;   in Loop: Header=BB19_66 Depth=1
	v_lshlrev_b64 v[33:34], 4, v[37:38]
	v_mov_b32_e32 v35, s19
	v_add_co_u32_e32 v41, vcc, s18, v33
	v_addc_co_u32_e32 v42, vcc, v35, v34, vcc
	;;#ASMSTART
	global_load_dwordx4 v[33:36], v[41:42] off glc	
s_waitcnt vmcnt(0)
	;;#ASMEND
	v_cmp_eq_u16_sdwa s[20:21], v35, v38 src0_sel:BYTE_0 src1_sel:DWORD
	s_and_saveexec_b64 s[2:3], s[20:21]
	s_cbranch_execz .LBB19_71
; %bb.68:                               ;   in Loop: Header=BB19_66 Depth=1
	s_mov_b64 s[20:21], 0
.LBB19_69:                              ;   Parent Loop BB19_66 Depth=1
                                        ; =>  This Inner Loop Header: Depth=2
	;;#ASMSTART
	global_load_dwordx4 v[33:36], v[41:42] off glc	
s_waitcnt vmcnt(0)
	;;#ASMEND
	v_cmp_ne_u16_sdwa s[24:25], v35, v38 src0_sel:BYTE_0 src1_sel:DWORD
	s_or_b64 s[20:21], s[24:25], s[20:21]
	s_andn2_b64 exec, exec, s[20:21]
	s_cbranch_execnz .LBB19_69
; %bb.70:                               ;   in Loop: Header=BB19_66 Depth=1
	s_or_b64 exec, exec, s[20:21]
.LBB19_71:                              ;   in Loop: Header=BB19_66 Depth=1
	s_or_b64 exec, exec, s[2:3]
	v_cmp_eq_u16_sdwa s[2:3], v35, v60 src0_sel:BYTE_0 src1_sel:DWORD
	v_and_b32_e32 v36, s3, v32
	v_or_b32_e32 v36, 0x80000000, v36
	ds_bpermute_b32 v61, v48, v33
	ds_bpermute_b32 v42, v48, v34
	v_and_b32_e32 v41, s2, v31
	v_ffbl_b32_e32 v36, v36
	v_add_u32_e32 v36, 32, v36
	v_ffbl_b32_e32 v41, v41
	v_min_u32_e32 v36, v41, v36
	v_cmp_le_u32_e32 vcc, v49, v36
	v_mov_b32_e32 v41, v33
	s_and_saveexec_b64 s[2:3], vcc
	s_cbranch_execz .LBB19_73
; %bb.72:                               ;   in Loop: Header=BB19_66 Depth=1
	s_waitcnt lgkmcnt(1)
	v_add_co_u32_e32 v41, vcc, v33, v61
	v_addc_co_u32_e32 v34, vcc, 0, v34, vcc
	v_add_co_u32_e32 v33, vcc, 0, v41
	s_waitcnt lgkmcnt(0)
	v_addc_co_u32_e32 v34, vcc, v42, v34, vcc
.LBB19_73:                              ;   in Loop: Header=BB19_66 Depth=1
	s_or_b64 exec, exec, s[2:3]
	s_waitcnt lgkmcnt(1)
	ds_bpermute_b32 v61, v50, v41
	s_waitcnt lgkmcnt(1)
	ds_bpermute_b32 v42, v50, v34
	v_cmp_le_u32_e32 vcc, v51, v36
	s_and_saveexec_b64 s[2:3], vcc
	s_cbranch_execz .LBB19_75
; %bb.74:                               ;   in Loop: Header=BB19_66 Depth=1
	s_waitcnt lgkmcnt(1)
	v_add_co_u32_e32 v41, vcc, v33, v61
	v_addc_co_u32_e32 v34, vcc, 0, v34, vcc
	v_add_co_u32_e32 v33, vcc, 0, v41
	s_waitcnt lgkmcnt(0)
	v_addc_co_u32_e32 v34, vcc, v42, v34, vcc
.LBB19_75:                              ;   in Loop: Header=BB19_66 Depth=1
	s_or_b64 exec, exec, s[2:3]
	s_waitcnt lgkmcnt(1)
	ds_bpermute_b32 v61, v52, v41
	s_waitcnt lgkmcnt(1)
	ds_bpermute_b32 v42, v52, v34
	v_cmp_le_u32_e32 vcc, v53, v36
	;; [unrolled: 16-line block ×4, first 2 shown]
	s_and_saveexec_b64 s[2:3], vcc
	s_cbranch_execz .LBB19_64
; %bb.80:                               ;   in Loop: Header=BB19_66 Depth=1
	s_waitcnt lgkmcnt(1)
	v_add_co_u32_e32 v41, vcc, v33, v61
	v_addc_co_u32_e32 v34, vcc, 0, v34, vcc
	v_add_co_u32_e32 v33, vcc, 0, v41
	s_waitcnt lgkmcnt(0)
	v_addc_co_u32_e32 v34, vcc, v42, v34, vcc
	s_branch .LBB19_64
.LBB19_81:
	s_and_saveexec_b64 s[2:3], s[0:1]
	s_cbranch_execz .LBB19_83
; %bb.82:
	s_add_i32 s0, s6, 64
	s_mov_b32 s1, 0
	s_lshl_b64 s[0:1], s[0:1], 4
	s_add_u32 s0, s18, s0
	s_addc_u32 s1, s19, s1
	v_add_co_u32_e32 v29, vcc, v39, v29
	v_mov_b32_e32 v34, s1
	v_addc_co_u32_e32 v30, vcc, v40, v30, vcc
	v_mov_b32_e32 v31, 2
	v_mov_b32_e32 v32, 0
	;; [unrolled: 1-line block ×3, first 2 shown]
	;;#ASMSTART
	global_store_dwordx4 v[33:34], v[29:32] off	
s_waitcnt vmcnt(0)
	;;#ASMEND
.LBB19_83:
	s_or_b64 exec, exec, s[2:3]
	v_cmp_eq_u32_e32 vcc, 0, v0
	s_and_saveexec_b64 s[0:1], vcc
; %bb.84:
	v_mov_b32_e32 v29, 0
	ds_write_b64 v29, v[39:40]
; %bb.85:
	s_or_b64 exec, exec, s[0:1]
	v_mov_b32_e32 v29, 0
	s_waitcnt lgkmcnt(0)
	; wave barrier
	ds_read_b64 v[29:30], v29
	v_cndmask_b32_e64 v32, v46, 0, vcc
	v_cndmask_b32_e64 v31, v47, 0, vcc
	s_waitcnt lgkmcnt(0)
	v_add_co_u32_e32 v29, vcc, v29, v32
	v_addc_co_u32_e32 v30, vcc, v30, v31, vcc
	s_load_dwordx4 s[0:3], s[4:5], 0x38
	s_branch .LBB19_104
.LBB19_86:
                                        ; implicit-def: $vgpr29_vgpr30
	s_load_dwordx4 s[0:3], s[4:5], 0x38
	s_cbranch_execz .LBB19_104
; %bb.87:
	s_load_dword s6, s[4:5], 0x48
	v_mov_b32_e32 v32, s15
	v_mov_b32_e32 v31, s14
	s_waitcnt lgkmcnt(0)
	s_bitcmp0_b32 s6, 0
	s_cbranch_scc1 .LBB19_89
; %bb.88:
	v_mov_b32_e32 v33, 0
	global_load_dwordx2 v[29:30], v33, s[0:1]
	global_load_dwordx2 v[31:32], v33, s[8:9] offset:-8
	s_waitcnt vmcnt(0)
	v_add_co_u32_e32 v31, vcc, v31, v29
	v_addc_co_u32_e32 v32, vcc, v32, v30, vcc
.LBB19_89:
	v_add_co_u32_e32 v29, vcc, v27, v25
	v_addc_co_u32_e32 v30, vcc, v28, v26, vcc
	v_add_co_u32_e32 v29, vcc, v29, v21
	v_addc_co_u32_e32 v30, vcc, v30, v22, vcc
	;; [unrolled: 2-line block ×12, first 2 shown]
	v_add_co_u32_e32 v3, vcc, v29, v3
	v_mbcnt_hi_u32_b32 v29, -1, v45
	v_addc_co_u32_e32 v4, vcc, v30, v4, vcc
	v_and_b32_e32 v33, 15, v29
	v_mov_b32_dpp v35, v3 row_shr:1 row_mask:0xf bank_mask:0xf
	v_mov_b32_dpp v34, v4 row_shr:1 row_mask:0xf bank_mask:0xf
	v_cmp_ne_u32_e32 vcc, 0, v33
	v_mov_b32_e32 v30, v3
	s_and_saveexec_b64 s[0:1], vcc
; %bb.90:
	v_add_co_u32_e32 v30, vcc, v3, v35
	v_addc_co_u32_e32 v4, vcc, 0, v4, vcc
	v_add_co_u32_e32 v3, vcc, 0, v30
	v_addc_co_u32_e32 v4, vcc, v34, v4, vcc
; %bb.91:
	s_or_b64 exec, exec, s[0:1]
	v_mov_b32_dpp v35, v30 row_shr:2 row_mask:0xf bank_mask:0xf
	v_mov_b32_dpp v34, v4 row_shr:2 row_mask:0xf bank_mask:0xf
	v_cmp_lt_u32_e32 vcc, 1, v33
	s_and_saveexec_b64 s[0:1], vcc
; %bb.92:
	v_add_co_u32_e32 v30, vcc, v3, v35
	v_addc_co_u32_e32 v4, vcc, 0, v4, vcc
	v_add_co_u32_e32 v3, vcc, 0, v30
	v_addc_co_u32_e32 v4, vcc, v34, v4, vcc
; %bb.93:
	s_or_b64 exec, exec, s[0:1]
	v_mov_b32_dpp v35, v30 row_shr:4 row_mask:0xf bank_mask:0xf
	v_mov_b32_dpp v34, v4 row_shr:4 row_mask:0xf bank_mask:0xf
	v_cmp_lt_u32_e32 vcc, 3, v33
	;; [unrolled: 11-line block ×3, first 2 shown]
	s_and_saveexec_b64 s[0:1], vcc
; %bb.96:
	v_add_co_u32_e32 v30, vcc, v3, v35
	v_addc_co_u32_e32 v4, vcc, 0, v4, vcc
	v_add_co_u32_e32 v3, vcc, 0, v30
	v_addc_co_u32_e32 v4, vcc, v34, v4, vcc
; %bb.97:
	s_or_b64 exec, exec, s[0:1]
	v_and_b32_e32 v35, 16, v29
	v_mov_b32_dpp v34, v30 row_bcast:15 row_mask:0xf bank_mask:0xf
	v_mov_b32_dpp v33, v4 row_bcast:15 row_mask:0xf bank_mask:0xf
	v_cmp_ne_u32_e32 vcc, 0, v35
	s_and_saveexec_b64 s[0:1], vcc
; %bb.98:
	v_add_co_u32_e32 v30, vcc, v3, v34
	v_addc_co_u32_e32 v4, vcc, 0, v4, vcc
	v_add_co_u32_e32 v3, vcc, 0, v30
	v_addc_co_u32_e32 v4, vcc, v33, v4, vcc
; %bb.99:
	s_or_b64 exec, exec, s[0:1]
	v_mov_b32_dpp v33, v30 row_bcast:31 row_mask:0xf bank_mask:0xf
	v_add_co_u32_e32 v33, vcc, v3, v33
	v_addc_co_u32_e32 v35, vcc, 0, v4, vcc
	v_mov_b32_dpp v34, v4 row_bcast:31 row_mask:0xf bank_mask:0xf
	v_add_co_u32_e32 v33, vcc, 0, v33
	v_addc_co_u32_e32 v34, vcc, v35, v34, vcc
	v_cmp_lt_u32_e32 vcc, 31, v29
	v_mov_b32_e32 v30, 0
	v_cndmask_b32_e32 v4, v4, v34, vcc
	v_cndmask_b32_e32 v3, v3, v33, vcc
	v_cmp_eq_u32_e32 vcc, 63, v0
	s_and_saveexec_b64 s[0:1], vcc
; %bb.100:
	ds_write_b64 v30, v[3:4]
; %bb.101:
	s_or_b64 exec, exec, s[0:1]
	v_add_co_u32_e32 v3, vcc, v3, v31
	v_addc_co_u32_e32 v4, vcc, v4, v32, vcc
	v_subrev_co_u32_e32 v30, vcc, 1, v29
	v_and_b32_e32 v33, 64, v29
	v_cmp_lt_i32_e64 s[0:1], v30, v33
	v_cndmask_b32_e64 v29, v30, v29, s[0:1]
	v_lshlrev_b32_e32 v29, 2, v29
	ds_bpermute_b32 v4, v29, v4
	ds_bpermute_b32 v3, v29, v3
	v_cmp_eq_u32_e64 s[0:1], 0, v0
	s_or_b64 vcc, s[0:1], vcc
	s_waitcnt lgkmcnt(0)
	v_cndmask_b32_e32 v30, v4, v32, vcc
	v_cndmask_b32_e32 v29, v3, v31, vcc
	; wave barrier
	s_and_saveexec_b64 s[6:7], s[0:1]
	s_cbranch_execz .LBB19_103
; %bb.102:
	v_mov_b32_e32 v36, 0
	ds_read_b64 v[3:4], v36
	s_add_u32 s0, s18, 0x400
	s_addc_u32 s1, s19, 0
	v_mov_b32_e32 v35, 2
	v_mov_b32_e32 v29, v31
	s_waitcnt lgkmcnt(0)
	v_add_co_u32_e32 v33, vcc, v3, v31
	v_addc_co_u32_e32 v34, vcc, v4, v32, vcc
	v_mov_b32_e32 v4, s1
	v_mov_b32_e32 v3, s0
	;;#ASMSTART
	global_store_dwordx4 v[3:4], v[33:36] off	
s_waitcnt vmcnt(0)
	;;#ASMEND
	v_mov_b32_e32 v30, v32
.LBB19_103:
	s_or_b64 exec, exec, s[6:7]
.LBB19_104:
	v_add_co_u32_e32 v31, vcc, v29, v25
	v_addc_co_u32_e32 v32, vcc, v30, v26, vcc
	v_add_co_u32_e32 v25, vcc, v31, v27
	v_addc_co_u32_e32 v26, vcc, v32, v28, vcc
	;; [unrolled: 2-line block ×13, first 2 shown]
	s_waitcnt lgkmcnt(0)
	s_add_u32 s0, s10, s16
	s_addc_u32 s1, s11, s17
	s_mov_b64 s[6:7], -1
	s_and_b64 vcc, exec, s[12:13]
	; wave barrier
	s_cbranch_vccz .LBB19_106
; %bb.105:
	ds_write_b128 v44, v[29:32]
	ds_write_b128 v44, v[25:28] offset:16
	ds_write_b128 v44, v[21:24] offset:32
	ds_write_b128 v44, v[17:20] offset:48
	ds_write_b128 v44, v[13:16] offset:64
	ds_write_b128 v44, v[9:12] offset:80
	ds_write_b128 v44, v[3:6] offset:96
	s_waitcnt lgkmcnt(0)
	; wave barrier
	ds_read2st64_b64 v[33:36], v43 offset1:1
	ds_read2st64_b64 v[37:40], v43 offset0:2 offset1:3
	ds_read2st64_b64 v[45:48], v43 offset0:4 offset1:5
	;; [unrolled: 1-line block ×6, first 2 shown]
	v_mov_b32_e32 v1, s1
	v_add_co_u32_e32 v2, vcc, s0, v43
	v_addc_co_u32_e32 v7, vcc, 0, v1, vcc
	v_add_co_u32_e32 v1, vcc, 0x1000, v2
	v_addc_co_u32_e32 v2, vcc, 0, v7, vcc
	s_waitcnt lgkmcnt(6)
	global_store_dwordx2 v43, v[33:34], s[0:1]
	global_store_dwordx2 v43, v[35:36], s[0:1] offset:512
	s_waitcnt lgkmcnt(5)
	global_store_dwordx2 v43, v[37:38], s[0:1] offset:1024
	global_store_dwordx2 v43, v[39:40], s[0:1] offset:1536
	s_waitcnt lgkmcnt(4)
	global_store_dwordx2 v43, v[45:46], s[0:1] offset:2048
	;; [unrolled: 3-line block ×3, first 2 shown]
	global_store_dwordx2 v43, v[51:52], s[0:1] offset:3584
	s_waitcnt lgkmcnt(2)
	global_store_dwordx2 v[1:2], v[53:54], off
	global_store_dwordx2 v[1:2], v[55:56], off offset:512
	s_waitcnt lgkmcnt(1)
	global_store_dwordx2 v[1:2], v[57:58], off offset:1024
	global_store_dwordx2 v[1:2], v[59:60], off offset:1536
	s_waitcnt lgkmcnt(0)
	global_store_dwordx2 v[1:2], v[61:62], off offset:2048
	global_store_dwordx2 v[1:2], v[63:64], off offset:2560
	s_mov_b64 s[6:7], 0
.LBB19_106:
	s_andn2_b64 vcc, exec, s[6:7]
	s_cbranch_vccnz .LBB19_186
; %bb.107:
	ds_write_b128 v44, v[29:32]
	ds_write_b128 v44, v[25:28] offset:16
	ds_write_b128 v44, v[21:24] offset:32
	;; [unrolled: 1-line block ×6, first 2 shown]
	s_waitcnt lgkmcnt(0)
	; wave barrier
	ds_read2st64_b64 v[6:9], v43 offset1:1
	ds_read2st64_b64 v[10:13], v43 offset0:2 offset1:3
	ds_read2st64_b64 v[14:17], v43 offset0:4 offset1:5
	ds_read2st64_b64 v[2:5], v43 offset0:6 offset1:7
	ds_read2st64_b64 v[22:25], v43 offset0:8 offset1:9
	ds_read2st64_b64 v[18:21], v43 offset0:10 offset1:11
	ds_read2st64_b64 v[26:29], v43 offset0:12 offset1:13
	v_mov_b32_e32 v31, s1
	v_add_co_u32_e32 v30, vcc, s0, v43
	v_addc_co_u32_e32 v31, vcc, 0, v31, vcc
	v_mov_b32_e32 v1, 0
	v_cmp_gt_u32_e32 vcc, s22, v0
	s_and_saveexec_b64 s[0:1], vcc
	s_cbranch_execz .LBB19_109
; %bb.108:
	s_waitcnt lgkmcnt(6)
	global_store_dwordx2 v[30:31], v[6:7], off
.LBB19_109:
	s_or_b64 exec, exec, s[0:1]
	v_or_b32_e32 v32, 64, v0
	v_cmp_gt_u32_e32 vcc, s22, v32
	s_and_saveexec_b64 s[0:1], vcc
	s_cbranch_execz .LBB19_111
; %bb.110:
	s_waitcnt lgkmcnt(6)
	global_store_dwordx2 v[30:31], v[8:9], off offset:512
.LBB19_111:
	s_or_b64 exec, exec, s[0:1]
	v_or_b32_e32 v32, 0x80, v0
	v_cmp_gt_u32_e32 vcc, s22, v32
	s_and_saveexec_b64 s[0:1], vcc
	s_cbranch_execz .LBB19_113
; %bb.112:
	s_waitcnt lgkmcnt(5)
	global_store_dwordx2 v[30:31], v[10:11], off offset:1024
.LBB19_113:
	;; [unrolled: 9-line block ×7, first 2 shown]
	s_or_b64 exec, exec, s[0:1]
	v_or_b32_e32 v32, 0x200, v0
	v_cmp_gt_u32_e32 vcc, s22, v32
	s_and_saveexec_b64 s[0:1], vcc
	s_cbranch_execz .LBB19_125
; %bb.124:
	v_add_co_u32_e32 v32, vcc, 0x1000, v30
	v_addc_co_u32_e32 v33, vcc, 0, v31, vcc
	s_waitcnt lgkmcnt(2)
	global_store_dwordx2 v[32:33], v[22:23], off
.LBB19_125:
	s_or_b64 exec, exec, s[0:1]
	v_or_b32_e32 v32, 0x240, v0
	v_cmp_gt_u32_e32 vcc, s22, v32
	s_and_saveexec_b64 s[0:1], vcc
	s_cbranch_execz .LBB19_127
; %bb.126:
	v_add_co_u32_e32 v32, vcc, 0x1000, v30
	v_addc_co_u32_e32 v33, vcc, 0, v31, vcc
	s_waitcnt lgkmcnt(2)
	global_store_dwordx2 v[32:33], v[24:25], off offset:512
.LBB19_127:
	s_or_b64 exec, exec, s[0:1]
	v_or_b32_e32 v32, 0x280, v0
	v_cmp_gt_u32_e32 vcc, s22, v32
	s_and_saveexec_b64 s[0:1], vcc
	s_cbranch_execz .LBB19_129
; %bb.128:
	v_add_co_u32_e32 v32, vcc, 0x1000, v30
	v_addc_co_u32_e32 v33, vcc, 0, v31, vcc
	s_waitcnt lgkmcnt(1)
	global_store_dwordx2 v[32:33], v[18:19], off offset:1024
.LBB19_129:
	;; [unrolled: 11-line block ×5, first 2 shown]
	s_or_b64 exec, exec, s[0:1]
	s_load_dword s0, s[4:5], 0x48
	s_waitcnt lgkmcnt(0)
	s_bfe_u32 s0, s0, 0x10008
	s_cmp_eq_u32 s0, 0
	s_cbranch_scc1 .LBB19_186
; %bb.136:
	s_add_u32 s0, s22, -1
	s_addc_u32 s1, s23, -1
	s_lshr_b64 s[4:5], s[0:1], 1
	s_lshr_b32 s7, s1, 1
	s_mul_hi_u32 s5, s4, 0x49249249
	s_mul_i32 s6, s4, 0x49249249
	s_mul_i32 s9, s7, 0x24924925
	s_mul_hi_u32 s4, s4, 0x24924925
	s_mul_hi_u32 s8, s7, 0x24924925
	s_add_u32 s4, s9, s4
	s_addc_u32 s8, s8, 0
	s_add_u32 s4, s6, s4
	s_addc_u32 s4, s5, 0
	;; [unrolled: 2-line block ×3, first 2 shown]
	s_mul_hi_u32 s6, s7, 0x49249249
	s_mul_i32 s7, s7, 0x49249249
	s_add_u32 s4, s7, s4
	s_addc_u32 s5, s6, s5
	s_lshr_b64 s[4:5], s[4:5], 1
	v_cmp_eq_u64_e32 vcc, s[4:5], v[0:1]
	s_and_saveexec_b64 s[4:5], vcc
	s_cbranch_execz .LBB19_186
; %bb.137:
	v_mul_hi_u32_u24_e32 v1, 14, v0
	v_mul_u32_u24_e32 v0, 14, v0
	v_mov_b32_e32 v30, s1
	v_sub_co_u32_e32 v0, vcc, s0, v0
	v_subb_co_u32_e32 v1, vcc, v30, v1, vcc
	v_cmp_lt_i64_e32 vcc, 6, v[0:1]
	s_and_saveexec_b64 s[0:1], vcc
	s_xor_b64 s[0:1], exec, s[0:1]
	s_cbranch_execz .LBB19_163
; %bb.138:
	v_cmp_lt_i64_e32 vcc, 9, v[0:1]
	s_and_saveexec_b64 s[4:5], vcc
	s_xor_b64 s[4:5], exec, s[4:5]
	s_cbranch_execz .LBB19_152
; %bb.139:
	;; [unrolled: 5-line block ×4, first 2 shown]
	v_mov_b32_e32 v0, 0
	global_store_dwordx2 v0, v[28:29], s[2:3]
                                        ; implicit-def: $vgpr26_vgpr27_vgpr28_vgpr29
.LBB19_142:
	s_andn2_saveexec_b64 s[8:9], s[8:9]
	s_cbranch_execz .LBB19_144
; %bb.143:
	v_mov_b32_e32 v0, 0
	global_store_dwordx2 v0, v[26:27], s[2:3]
.LBB19_144:
	s_or_b64 exec, exec, s[8:9]
                                        ; implicit-def: $vgpr18_vgpr19_vgpr20_vgpr21
                                        ; implicit-def: $vgpr0_vgpr1
.LBB19_145:
	s_andn2_saveexec_b64 s[6:7], s[6:7]
	s_cbranch_execz .LBB19_151
; %bb.146:
	v_cmp_lt_i64_e32 vcc, 10, v[0:1]
	s_and_saveexec_b64 s[8:9], vcc
	s_xor_b64 s[8:9], exec, s[8:9]
	s_cbranch_execz .LBB19_148
; %bb.147:
	v_mov_b32_e32 v0, 0
	global_store_dwordx2 v0, v[20:21], s[2:3]
                                        ; implicit-def: $vgpr18_vgpr19_vgpr20_vgpr21
.LBB19_148:
	s_andn2_saveexec_b64 s[8:9], s[8:9]
	s_cbranch_execz .LBB19_150
; %bb.149:
	v_mov_b32_e32 v0, 0
	global_store_dwordx2 v0, v[18:19], s[2:3]
.LBB19_150:
	s_or_b64 exec, exec, s[8:9]
.LBB19_151:
	s_or_b64 exec, exec, s[6:7]
                                        ; implicit-def: $vgpr2_vgpr3_vgpr4_vgpr5
                                        ; implicit-def: $vgpr0_vgpr1
                                        ; implicit-def: $vgpr22_vgpr23_vgpr24_vgpr25
.LBB19_152:
	s_andn2_saveexec_b64 s[4:5], s[4:5]
	s_cbranch_execz .LBB19_162
; %bb.153:
	v_cmp_lt_i64_e32 vcc, 7, v[0:1]
	s_and_saveexec_b64 s[6:7], vcc
	s_xor_b64 s[6:7], exec, s[6:7]
	s_cbranch_execz .LBB19_159
; %bb.154:
	v_cmp_lt_i64_e32 vcc, 8, v[0:1]
	s_and_saveexec_b64 s[8:9], vcc
	s_xor_b64 s[8:9], exec, s[8:9]
	s_cbranch_execz .LBB19_156
; %bb.155:
	v_mov_b32_e32 v0, 0
	global_store_dwordx2 v0, v[24:25], s[2:3]
                                        ; implicit-def: $vgpr22_vgpr23_vgpr24_vgpr25
.LBB19_156:
	s_andn2_saveexec_b64 s[8:9], s[8:9]
	s_cbranch_execz .LBB19_158
; %bb.157:
	v_mov_b32_e32 v0, 0
	global_store_dwordx2 v0, v[22:23], s[2:3]
.LBB19_158:
	s_or_b64 exec, exec, s[8:9]
                                        ; implicit-def: $vgpr2_vgpr3_vgpr4_vgpr5
.LBB19_159:
	s_andn2_saveexec_b64 s[6:7], s[6:7]
	s_cbranch_execz .LBB19_161
; %bb.160:
	v_mov_b32_e32 v0, 0
	global_store_dwordx2 v0, v[4:5], s[2:3]
.LBB19_161:
	s_or_b64 exec, exec, s[6:7]
.LBB19_162:
	s_or_b64 exec, exec, s[4:5]
                                        ; implicit-def: $vgpr0_vgpr1
                                        ; implicit-def: $vgpr14_vgpr15_vgpr16_vgpr17
                                        ; implicit-def: $vgpr6_vgpr7_vgpr8_vgpr9
                                        ; implicit-def: $vgpr10_vgpr11_vgpr12_vgpr13
                                        ; implicit-def: $vgpr2_vgpr3_vgpr4_vgpr5
.LBB19_163:
	s_andn2_saveexec_b64 s[0:1], s[0:1]
	s_cbranch_execz .LBB19_186
; %bb.164:
	v_cmp_lt_i64_e32 vcc, 3, v[0:1]
	s_and_saveexec_b64 s[0:1], vcc
	s_xor_b64 s[0:1], exec, s[0:1]
	s_cbranch_execz .LBB19_174
; %bb.165:
	v_cmp_lt_i64_e32 vcc, 4, v[0:1]
	s_and_saveexec_b64 s[4:5], vcc
	s_xor_b64 s[4:5], exec, s[4:5]
	;; [unrolled: 5-line block ×3, first 2 shown]
	s_cbranch_execz .LBB19_168
; %bb.167:
	v_mov_b32_e32 v0, 0
	global_store_dwordx2 v0, v[2:3], s[2:3]
                                        ; implicit-def: $vgpr14_vgpr15_vgpr16_vgpr17
.LBB19_168:
	s_andn2_saveexec_b64 s[6:7], s[6:7]
	s_cbranch_execz .LBB19_170
; %bb.169:
	v_mov_b32_e32 v0, 0
	global_store_dwordx2 v0, v[16:17], s[2:3]
.LBB19_170:
	s_or_b64 exec, exec, s[6:7]
                                        ; implicit-def: $vgpr14_vgpr15_vgpr16_vgpr17
.LBB19_171:
	s_andn2_saveexec_b64 s[4:5], s[4:5]
	s_cbranch_execz .LBB19_173
; %bb.172:
	v_mov_b32_e32 v0, 0
	global_store_dwordx2 v0, v[14:15], s[2:3]
.LBB19_173:
	s_or_b64 exec, exec, s[4:5]
                                        ; implicit-def: $vgpr0_vgpr1
                                        ; implicit-def: $vgpr6_vgpr7_vgpr8_vgpr9
                                        ; implicit-def: $vgpr10_vgpr11_vgpr12_vgpr13
.LBB19_174:
	s_andn2_saveexec_b64 s[0:1], s[0:1]
	s_cbranch_execz .LBB19_186
; %bb.175:
	v_cmp_lt_i64_e32 vcc, 1, v[0:1]
	s_and_saveexec_b64 s[0:1], vcc
	s_xor_b64 s[0:1], exec, s[0:1]
	s_cbranch_execz .LBB19_181
; %bb.176:
	v_cmp_lt_i64_e32 vcc, 2, v[0:1]
	s_and_saveexec_b64 s[4:5], vcc
	s_xor_b64 s[4:5], exec, s[4:5]
	s_cbranch_execz .LBB19_178
; %bb.177:
	v_mov_b32_e32 v0, 0
	global_store_dwordx2 v0, v[12:13], s[2:3]
                                        ; implicit-def: $vgpr10_vgpr11_vgpr12_vgpr13
.LBB19_178:
	s_andn2_saveexec_b64 s[4:5], s[4:5]
	s_cbranch_execz .LBB19_180
; %bb.179:
	v_mov_b32_e32 v0, 0
	global_store_dwordx2 v0, v[10:11], s[2:3]
.LBB19_180:
	s_or_b64 exec, exec, s[4:5]
                                        ; implicit-def: $vgpr6_vgpr7_vgpr8_vgpr9
                                        ; implicit-def: $vgpr0_vgpr1
.LBB19_181:
	s_andn2_saveexec_b64 s[0:1], s[0:1]
	s_cbranch_execz .LBB19_186
; %bb.182:
	v_cmp_ne_u64_e32 vcc, 1, v[0:1]
	s_and_saveexec_b64 s[0:1], vcc
	s_xor_b64 s[0:1], exec, s[0:1]
	s_cbranch_execz .LBB19_184
; %bb.183:
	v_mov_b32_e32 v0, 0
	global_store_dwordx2 v0, v[6:7], s[2:3]
                                        ; implicit-def: $vgpr6_vgpr7_vgpr8_vgpr9
.LBB19_184:
	s_andn2_saveexec_b64 s[0:1], s[0:1]
	s_cbranch_execz .LBB19_186
; %bb.185:
	v_mov_b32_e32 v0, 0
	global_store_dwordx2 v0, v[8:9], s[2:3]
.LBB19_186:
	s_endpgm
	.section	.rodata,"a",@progbits
	.p2align	6, 0x0
	.amdhsa_kernel _ZN7rocprim17ROCPRIM_304000_NS6detail20lookback_scan_kernelILNS1_25lookback_scan_determinismE0ELb1ENS1_19wrapped_scan_configINS0_14default_configElEEPKlPlN2at4cuda3cub12_GLOBAL__N_15SumOpIlEEllNS1_19lookback_scan_stateIlLb0ELb1EEEEEvT2_T3_mT5_T4_T7_jPT6_SO_bb
		.amdhsa_group_segment_fixed_size 7168
		.amdhsa_private_segment_fixed_size 0
		.amdhsa_kernarg_size 76
		.amdhsa_user_sgpr_count 6
		.amdhsa_user_sgpr_private_segment_buffer 1
		.amdhsa_user_sgpr_dispatch_ptr 0
		.amdhsa_user_sgpr_queue_ptr 0
		.amdhsa_user_sgpr_kernarg_segment_ptr 1
		.amdhsa_user_sgpr_dispatch_id 0
		.amdhsa_user_sgpr_flat_scratch_init 0
		.amdhsa_user_sgpr_private_segment_size 0
		.amdhsa_uses_dynamic_stack 0
		.amdhsa_system_sgpr_private_segment_wavefront_offset 0
		.amdhsa_system_sgpr_workgroup_id_x 1
		.amdhsa_system_sgpr_workgroup_id_y 0
		.amdhsa_system_sgpr_workgroup_id_z 0
		.amdhsa_system_sgpr_workgroup_info 0
		.amdhsa_system_vgpr_workitem_id 0
		.amdhsa_next_free_vgpr 65
		.amdhsa_next_free_sgpr 98
		.amdhsa_reserve_vcc 1
		.amdhsa_reserve_flat_scratch 0
		.amdhsa_float_round_mode_32 0
		.amdhsa_float_round_mode_16_64 0
		.amdhsa_float_denorm_mode_32 3
		.amdhsa_float_denorm_mode_16_64 3
		.amdhsa_dx10_clamp 1
		.amdhsa_ieee_mode 1
		.amdhsa_fp16_overflow 0
		.amdhsa_exception_fp_ieee_invalid_op 0
		.amdhsa_exception_fp_denorm_src 0
		.amdhsa_exception_fp_ieee_div_zero 0
		.amdhsa_exception_fp_ieee_overflow 0
		.amdhsa_exception_fp_ieee_underflow 0
		.amdhsa_exception_fp_ieee_inexact 0
		.amdhsa_exception_int_div_zero 0
	.end_amdhsa_kernel
	.section	.text._ZN7rocprim17ROCPRIM_304000_NS6detail20lookback_scan_kernelILNS1_25lookback_scan_determinismE0ELb1ENS1_19wrapped_scan_configINS0_14default_configElEEPKlPlN2at4cuda3cub12_GLOBAL__N_15SumOpIlEEllNS1_19lookback_scan_stateIlLb0ELb1EEEEEvT2_T3_mT5_T4_T7_jPT6_SO_bb,"axG",@progbits,_ZN7rocprim17ROCPRIM_304000_NS6detail20lookback_scan_kernelILNS1_25lookback_scan_determinismE0ELb1ENS1_19wrapped_scan_configINS0_14default_configElEEPKlPlN2at4cuda3cub12_GLOBAL__N_15SumOpIlEEllNS1_19lookback_scan_stateIlLb0ELb1EEEEEvT2_T3_mT5_T4_T7_jPT6_SO_bb,comdat
.Lfunc_end19:
	.size	_ZN7rocprim17ROCPRIM_304000_NS6detail20lookback_scan_kernelILNS1_25lookback_scan_determinismE0ELb1ENS1_19wrapped_scan_configINS0_14default_configElEEPKlPlN2at4cuda3cub12_GLOBAL__N_15SumOpIlEEllNS1_19lookback_scan_stateIlLb0ELb1EEEEEvT2_T3_mT5_T4_T7_jPT6_SO_bb, .Lfunc_end19-_ZN7rocprim17ROCPRIM_304000_NS6detail20lookback_scan_kernelILNS1_25lookback_scan_determinismE0ELb1ENS1_19wrapped_scan_configINS0_14default_configElEEPKlPlN2at4cuda3cub12_GLOBAL__N_15SumOpIlEEllNS1_19lookback_scan_stateIlLb0ELb1EEEEEvT2_T3_mT5_T4_T7_jPT6_SO_bb
                                        ; -- End function
	.set _ZN7rocprim17ROCPRIM_304000_NS6detail20lookback_scan_kernelILNS1_25lookback_scan_determinismE0ELb1ENS1_19wrapped_scan_configINS0_14default_configElEEPKlPlN2at4cuda3cub12_GLOBAL__N_15SumOpIlEEllNS1_19lookback_scan_stateIlLb0ELb1EEEEEvT2_T3_mT5_T4_T7_jPT6_SO_bb.num_vgpr, 65
	.set _ZN7rocprim17ROCPRIM_304000_NS6detail20lookback_scan_kernelILNS1_25lookback_scan_determinismE0ELb1ENS1_19wrapped_scan_configINS0_14default_configElEEPKlPlN2at4cuda3cub12_GLOBAL__N_15SumOpIlEEllNS1_19lookback_scan_stateIlLb0ELb1EEEEEvT2_T3_mT5_T4_T7_jPT6_SO_bb.num_agpr, 0
	.set _ZN7rocprim17ROCPRIM_304000_NS6detail20lookback_scan_kernelILNS1_25lookback_scan_determinismE0ELb1ENS1_19wrapped_scan_configINS0_14default_configElEEPKlPlN2at4cuda3cub12_GLOBAL__N_15SumOpIlEEllNS1_19lookback_scan_stateIlLb0ELb1EEEEEvT2_T3_mT5_T4_T7_jPT6_SO_bb.numbered_sgpr, 26
	.set _ZN7rocprim17ROCPRIM_304000_NS6detail20lookback_scan_kernelILNS1_25lookback_scan_determinismE0ELb1ENS1_19wrapped_scan_configINS0_14default_configElEEPKlPlN2at4cuda3cub12_GLOBAL__N_15SumOpIlEEllNS1_19lookback_scan_stateIlLb0ELb1EEEEEvT2_T3_mT5_T4_T7_jPT6_SO_bb.num_named_barrier, 0
	.set _ZN7rocprim17ROCPRIM_304000_NS6detail20lookback_scan_kernelILNS1_25lookback_scan_determinismE0ELb1ENS1_19wrapped_scan_configINS0_14default_configElEEPKlPlN2at4cuda3cub12_GLOBAL__N_15SumOpIlEEllNS1_19lookback_scan_stateIlLb0ELb1EEEEEvT2_T3_mT5_T4_T7_jPT6_SO_bb.private_seg_size, 0
	.set _ZN7rocprim17ROCPRIM_304000_NS6detail20lookback_scan_kernelILNS1_25lookback_scan_determinismE0ELb1ENS1_19wrapped_scan_configINS0_14default_configElEEPKlPlN2at4cuda3cub12_GLOBAL__N_15SumOpIlEEllNS1_19lookback_scan_stateIlLb0ELb1EEEEEvT2_T3_mT5_T4_T7_jPT6_SO_bb.uses_vcc, 1
	.set _ZN7rocprim17ROCPRIM_304000_NS6detail20lookback_scan_kernelILNS1_25lookback_scan_determinismE0ELb1ENS1_19wrapped_scan_configINS0_14default_configElEEPKlPlN2at4cuda3cub12_GLOBAL__N_15SumOpIlEEllNS1_19lookback_scan_stateIlLb0ELb1EEEEEvT2_T3_mT5_T4_T7_jPT6_SO_bb.uses_flat_scratch, 0
	.set _ZN7rocprim17ROCPRIM_304000_NS6detail20lookback_scan_kernelILNS1_25lookback_scan_determinismE0ELb1ENS1_19wrapped_scan_configINS0_14default_configElEEPKlPlN2at4cuda3cub12_GLOBAL__N_15SumOpIlEEllNS1_19lookback_scan_stateIlLb0ELb1EEEEEvT2_T3_mT5_T4_T7_jPT6_SO_bb.has_dyn_sized_stack, 0
	.set _ZN7rocprim17ROCPRIM_304000_NS6detail20lookback_scan_kernelILNS1_25lookback_scan_determinismE0ELb1ENS1_19wrapped_scan_configINS0_14default_configElEEPKlPlN2at4cuda3cub12_GLOBAL__N_15SumOpIlEEllNS1_19lookback_scan_stateIlLb0ELb1EEEEEvT2_T3_mT5_T4_T7_jPT6_SO_bb.has_recursion, 0
	.set _ZN7rocprim17ROCPRIM_304000_NS6detail20lookback_scan_kernelILNS1_25lookback_scan_determinismE0ELb1ENS1_19wrapped_scan_configINS0_14default_configElEEPKlPlN2at4cuda3cub12_GLOBAL__N_15SumOpIlEEllNS1_19lookback_scan_stateIlLb0ELb1EEEEEvT2_T3_mT5_T4_T7_jPT6_SO_bb.has_indirect_call, 0
	.section	.AMDGPU.csdata,"",@progbits
; Kernel info:
; codeLenInByte = 5528
; TotalNumSgprs: 30
; NumVgprs: 65
; ScratchSize: 0
; MemoryBound: 1
; FloatMode: 240
; IeeeMode: 1
; LDSByteSize: 7168 bytes/workgroup (compile time only)
; SGPRBlocks: 12
; VGPRBlocks: 16
; NumSGPRsForWavesPerEU: 102
; NumVGPRsForWavesPerEU: 65
; Occupancy: 3
; WaveLimiterHint : 1
; COMPUTE_PGM_RSRC2:SCRATCH_EN: 0
; COMPUTE_PGM_RSRC2:USER_SGPR: 6
; COMPUTE_PGM_RSRC2:TRAP_HANDLER: 0
; COMPUTE_PGM_RSRC2:TGID_X_EN: 1
; COMPUTE_PGM_RSRC2:TGID_Y_EN: 0
; COMPUTE_PGM_RSRC2:TGID_Z_EN: 0
; COMPUTE_PGM_RSRC2:TIDIG_COMP_CNT: 0
	.section	.text._ZN7rocprim17ROCPRIM_304000_NS6detail18single_scan_kernelILb1ENS1_19wrapped_scan_configINS0_14default_configElEEPKlPlN2at4cuda3cub12_GLOBAL__N_15SumOpIlEEllEEvT1_mT4_T2_T3_,"axG",@progbits,_ZN7rocprim17ROCPRIM_304000_NS6detail18single_scan_kernelILb1ENS1_19wrapped_scan_configINS0_14default_configElEEPKlPlN2at4cuda3cub12_GLOBAL__N_15SumOpIlEEllEEvT1_mT4_T2_T3_,comdat
	.globl	_ZN7rocprim17ROCPRIM_304000_NS6detail18single_scan_kernelILb1ENS1_19wrapped_scan_configINS0_14default_configElEEPKlPlN2at4cuda3cub12_GLOBAL__N_15SumOpIlEEllEEvT1_mT4_T2_T3_ ; -- Begin function _ZN7rocprim17ROCPRIM_304000_NS6detail18single_scan_kernelILb1ENS1_19wrapped_scan_configINS0_14default_configElEEPKlPlN2at4cuda3cub12_GLOBAL__N_15SumOpIlEEllEEvT1_mT4_T2_T3_
	.p2align	8
	.type	_ZN7rocprim17ROCPRIM_304000_NS6detail18single_scan_kernelILb1ENS1_19wrapped_scan_configINS0_14default_configElEEPKlPlN2at4cuda3cub12_GLOBAL__N_15SumOpIlEEllEEvT1_mT4_T2_T3_,@function
_ZN7rocprim17ROCPRIM_304000_NS6detail18single_scan_kernelILb1ENS1_19wrapped_scan_configINS0_14default_configElEEPKlPlN2at4cuda3cub12_GLOBAL__N_15SumOpIlEEllEEvT1_mT4_T2_T3_: ; @_ZN7rocprim17ROCPRIM_304000_NS6detail18single_scan_kernelILb1ENS1_19wrapped_scan_configINS0_14default_configElEEPKlPlN2at4cuda3cub12_GLOBAL__N_15SumOpIlEEllEEvT1_mT4_T2_T3_
; %bb.0:
	s_load_dwordx8 s[36:43], s[4:5], 0x0
	v_lshlrev_b32_e32 v31, 3, v0
	s_waitcnt lgkmcnt(0)
	s_load_dwordx2 s[28:29], s[36:37], 0x0
	v_mov_b32_e32 v1, s37
	v_add_co_u32_e32 v3, vcc, s36, v31
	v_addc_co_u32_e32 v4, vcc, 0, v1, vcc
	s_waitcnt lgkmcnt(0)
	v_mov_b32_e32 v1, s28
	v_cmp_gt_u32_e64 s[0:1], s38, v0
	v_mov_b32_e32 v2, s29
	s_and_saveexec_b64 s[2:3], s[0:1]
	s_cbranch_execz .LBB20_2
; %bb.1:
	global_load_dwordx2 v[1:2], v[3:4], off
.LBB20_2:
	s_or_b64 exec, exec, s[2:3]
	v_or_b32_e32 v5, 64, v0
	v_cmp_gt_u32_e64 s[2:3], s38, v5
	v_mov_b32_e32 v5, s28
	v_mov_b32_e32 v6, s29
	s_and_saveexec_b64 s[4:5], s[2:3]
	s_cbranch_execz .LBB20_4
; %bb.3:
	global_load_dwordx2 v[5:6], v[3:4], off offset:512
.LBB20_4:
	s_or_b64 exec, exec, s[4:5]
	v_or_b32_e32 v7, 0x80, v0
	v_cmp_gt_u32_e64 s[4:5], s38, v7
	v_mov_b32_e32 v7, s28
	v_mov_b32_e32 v8, s29
	s_and_saveexec_b64 s[6:7], s[4:5]
	s_cbranch_execz .LBB20_6
; %bb.5:
	global_load_dwordx2 v[7:8], v[3:4], off offset:1024
.LBB20_6:
	;; [unrolled: 10-line block ×7, first 2 shown]
	s_or_b64 exec, exec, s[16:17]
	v_or_b32_e32 v19, 0x200, v0
	v_cmp_gt_u32_e64 s[16:17], s38, v19
	v_mov_b32_e32 v19, s28
	v_mov_b32_e32 v20, s29
	s_and_saveexec_b64 s[18:19], s[16:17]
	s_cbranch_execz .LBB20_18
; %bb.17:
	v_add_co_u32_e32 v19, vcc, 0x1000, v3
	v_addc_co_u32_e32 v20, vcc, 0, v4, vcc
	global_load_dwordx2 v[19:20], v[19:20], off
.LBB20_18:
	s_or_b64 exec, exec, s[18:19]
	v_or_b32_e32 v21, 0x240, v0
	v_cmp_gt_u32_e64 s[18:19], s38, v21
	v_mov_b32_e32 v21, s28
	v_mov_b32_e32 v22, s29
	s_and_saveexec_b64 s[20:21], s[18:19]
	s_cbranch_execz .LBB20_20
; %bb.19:
	v_add_co_u32_e32 v21, vcc, 0x1000, v3
	v_addc_co_u32_e32 v22, vcc, 0, v4, vcc
	global_load_dwordx2 v[21:22], v[21:22], off offset:512
.LBB20_20:
	s_or_b64 exec, exec, s[20:21]
	v_or_b32_e32 v23, 0x280, v0
	v_cmp_gt_u32_e64 s[20:21], s38, v23
	v_mov_b32_e32 v23, s28
	v_mov_b32_e32 v24, s29
	s_and_saveexec_b64 s[22:23], s[20:21]
	s_cbranch_execz .LBB20_22
; %bb.21:
	v_add_co_u32_e32 v23, vcc, 0x1000, v3
	v_addc_co_u32_e32 v24, vcc, 0, v4, vcc
	global_load_dwordx2 v[23:24], v[23:24], off offset:1024
.LBB20_22:
	s_or_b64 exec, exec, s[22:23]
	v_or_b32_e32 v25, 0x2c0, v0
	v_cmp_gt_u32_e64 s[22:23], s38, v25
	v_mov_b32_e32 v25, s28
	v_mov_b32_e32 v26, s29
	s_and_saveexec_b64 s[24:25], s[22:23]
	s_cbranch_execz .LBB20_24
; %bb.23:
	v_add_co_u32_e32 v25, vcc, 0x1000, v3
	v_addc_co_u32_e32 v26, vcc, 0, v4, vcc
	global_load_dwordx2 v[25:26], v[25:26], off offset:1536
.LBB20_24:
	s_or_b64 exec, exec, s[24:25]
	v_or_b32_e32 v27, 0x300, v0
	v_cmp_gt_u32_e64 s[24:25], s38, v27
	v_mov_b32_e32 v27, s28
	v_mov_b32_e32 v28, s29
	s_and_saveexec_b64 s[26:27], s[24:25]
	s_cbranch_execz .LBB20_26
; %bb.25:
	v_add_co_u32_e32 v27, vcc, 0x1000, v3
	v_addc_co_u32_e32 v28, vcc, 0, v4, vcc
	global_load_dwordx2 v[27:28], v[27:28], off offset:2048
.LBB20_26:
	s_or_b64 exec, exec, s[26:27]
	v_or_b32_e32 v29, 0x340, v0
	v_cmp_gt_u32_e64 s[26:27], s38, v29
	v_mov_b32_e32 v30, s29
	v_mov_b32_e32 v29, s28
	s_and_saveexec_b64 s[28:29], s[26:27]
	s_cbranch_execz .LBB20_28
; %bb.27:
	v_add_co_u32_e32 v3, vcc, 0x1000, v3
	v_addc_co_u32_e32 v4, vcc, 0, v4, vcc
	global_load_dwordx2 v[29:30], v[3:4], off offset:2560
.LBB20_28:
	s_or_b64 exec, exec, s[28:29]
	s_movk_i32 s28, 0x68
	s_waitcnt vmcnt(0)
	ds_write2st64_b64 v31, v[1:2], v[5:6] offset1:1
	ds_write2st64_b64 v31, v[7:8], v[9:10] offset0:2 offset1:3
	ds_write2st64_b64 v31, v[11:12], v[13:14] offset0:4 offset1:5
	ds_write2st64_b64 v31, v[15:16], v[17:18] offset0:6 offset1:7
	ds_write2st64_b64 v31, v[19:20], v[21:22] offset0:8 offset1:9
	ds_write2st64_b64 v31, v[23:24], v[25:26] offset0:10 offset1:11
	ds_write2st64_b64 v31, v[27:28], v[29:30] offset0:12 offset1:13
	v_mad_u32_u24 v25, v0, s28, v31
	s_waitcnt lgkmcnt(0)
	; wave barrier
	ds_read_b128 v[13:16], v25
	ds_read_b128 v[9:12], v25 offset:16
	ds_read_b128 v[5:8], v25 offset:32
	;; [unrolled: 1-line block ×6, first 2 shown]
	s_waitcnt lgkmcnt(6)
	v_add_co_u32_e32 v29, vcc, v15, v13
	v_addc_co_u32_e32 v30, vcc, v16, v14, vcc
	s_waitcnt lgkmcnt(5)
	v_add_co_u32_e32 v29, vcc, v29, v9
	v_addc_co_u32_e32 v30, vcc, v30, v10, vcc
	v_add_co_u32_e32 v29, vcc, v29, v11
	v_addc_co_u32_e32 v30, vcc, v30, v12, vcc
	s_waitcnt lgkmcnt(4)
	v_add_co_u32_e32 v29, vcc, v29, v5
	v_addc_co_u32_e32 v30, vcc, v30, v6, vcc
	;; [unrolled: 5-line block ×6, first 2 shown]
	v_add_co_u32_e32 v27, vcc, v29, v27
	v_mbcnt_lo_u32_b32 v29, -1, 0
	v_mbcnt_hi_u32_b32 v29, -1, v29
	v_addc_co_u32_e32 v28, vcc, v30, v28, vcc
	v_and_b32_e32 v32, 15, v29
	v_mov_b32_dpp v34, v27 row_shr:1 row_mask:0xf bank_mask:0xf
	v_mov_b32_dpp v33, v28 row_shr:1 row_mask:0xf bank_mask:0xf
	v_cmp_ne_u32_e32 vcc, 0, v32
	v_mov_b32_e32 v30, v27
	; wave barrier
	s_and_saveexec_b64 s[28:29], vcc
; %bb.29:
	v_add_co_u32_e32 v30, vcc, v27, v34
	v_addc_co_u32_e32 v28, vcc, 0, v28, vcc
	v_add_co_u32_e32 v27, vcc, 0, v30
	v_addc_co_u32_e32 v28, vcc, v33, v28, vcc
; %bb.30:
	s_or_b64 exec, exec, s[28:29]
	v_mov_b32_dpp v34, v30 row_shr:2 row_mask:0xf bank_mask:0xf
	v_mov_b32_dpp v33, v28 row_shr:2 row_mask:0xf bank_mask:0xf
	v_cmp_lt_u32_e32 vcc, 1, v32
	s_and_saveexec_b64 s[28:29], vcc
; %bb.31:
	v_add_co_u32_e32 v30, vcc, v27, v34
	v_addc_co_u32_e32 v28, vcc, 0, v28, vcc
	v_add_co_u32_e32 v27, vcc, 0, v30
	v_addc_co_u32_e32 v28, vcc, v33, v28, vcc
; %bb.32:
	s_or_b64 exec, exec, s[28:29]
	v_mov_b32_dpp v34, v30 row_shr:4 row_mask:0xf bank_mask:0xf
	v_mov_b32_dpp v33, v28 row_shr:4 row_mask:0xf bank_mask:0xf
	v_cmp_lt_u32_e32 vcc, 3, v32
	;; [unrolled: 11-line block ×3, first 2 shown]
	s_and_saveexec_b64 s[28:29], vcc
; %bb.35:
	v_add_co_u32_e32 v30, vcc, v27, v34
	v_addc_co_u32_e32 v28, vcc, 0, v28, vcc
	v_add_co_u32_e32 v27, vcc, 0, v30
	v_addc_co_u32_e32 v28, vcc, v33, v28, vcc
; %bb.36:
	s_or_b64 exec, exec, s[28:29]
	v_and_b32_e32 v34, 16, v29
	v_mov_b32_dpp v33, v30 row_bcast:15 row_mask:0xf bank_mask:0xf
	v_mov_b32_dpp v32, v28 row_bcast:15 row_mask:0xf bank_mask:0xf
	v_cmp_ne_u32_e32 vcc, 0, v34
	s_and_saveexec_b64 s[28:29], vcc
; %bb.37:
	v_add_co_u32_e32 v30, vcc, v27, v33
	v_addc_co_u32_e32 v28, vcc, 0, v28, vcc
	v_add_co_u32_e32 v27, vcc, 0, v30
	v_addc_co_u32_e32 v28, vcc, v32, v28, vcc
; %bb.38:
	s_or_b64 exec, exec, s[28:29]
	v_mov_b32_dpp v33, v30 row_bcast:31 row_mask:0xf bank_mask:0xf
	v_add_co_u32_e32 v33, vcc, v27, v33
	v_addc_co_u32_e32 v35, vcc, 0, v28, vcc
	v_mov_b32_dpp v34, v28 row_bcast:31 row_mask:0xf bank_mask:0xf
	v_add_co_u32_e32 v33, vcc, 0, v33
	v_addc_co_u32_e32 v34, vcc, v35, v34, vcc
	v_cmp_lt_u32_e32 vcc, 31, v29
	v_mul_u32_u24_e32 v32, 0x68, v0
	v_mov_b32_e32 v30, 0
	v_cndmask_b32_e32 v28, v28, v34, vcc
	v_cndmask_b32_e32 v27, v27, v33, vcc
	v_cmp_eq_u32_e32 vcc, 63, v0
	s_and_saveexec_b64 s[28:29], vcc
; %bb.39:
	ds_write_b64 v30, v[27:28]
; %bb.40:
	s_or_b64 exec, exec, s[28:29]
	v_mov_b32_e32 v30, s41
	v_add_co_u32_e32 v27, vcc, s40, v27
	v_addc_co_u32_e32 v28, vcc, v28, v30, vcc
	v_subrev_co_u32_e32 v30, vcc, 1, v29
	v_and_b32_e32 v33, 64, v29
	v_cmp_lt_i32_e64 s[28:29], v30, v33
	v_cndmask_b32_e64 v29, v30, v29, s[28:29]
	v_lshlrev_b32_e32 v29, 2, v29
	ds_bpermute_b32 v28, v29, v28
	ds_bpermute_b32 v27, v29, v27
	v_cmp_eq_u32_e64 s[28:29], 0, v0
	v_mov_b32_e32 v0, s41
	s_or_b64 vcc, s[28:29], vcc
	s_waitcnt lgkmcnt(1)
	v_cndmask_b32_e32 v28, v28, v0, vcc
	v_mov_b32_e32 v0, s40
	s_waitcnt lgkmcnt(0)
	v_cndmask_b32_e32 v27, v27, v0, vcc
	v_add_co_u32_e32 v29, vcc, v27, v13
	v_addc_co_u32_e32 v30, vcc, v28, v14, vcc
	v_add_co_u32_e32 v13, vcc, v29, v15
	v_addc_co_u32_e32 v14, vcc, v30, v16, vcc
	v_add_co_u32_e32 v15, vcc, v13, v9
	v_addc_co_u32_e32 v16, vcc, v14, v10, vcc
	v_add_co_u32_e32 v9, vcc, v15, v11
	v_addc_co_u32_e32 v10, vcc, v16, v12, vcc
	v_add_co_u32_e32 v11, vcc, v9, v5
	v_addc_co_u32_e32 v12, vcc, v10, v6, vcc
	v_add_co_u32_e32 v5, vcc, v11, v7
	v_addc_co_u32_e32 v6, vcc, v12, v8, vcc
	v_add_co_u32_e32 v7, vcc, v5, v1
	v_addc_co_u32_e32 v8, vcc, v6, v2, vcc
	v_add_co_u32_e32 v0, vcc, v7, v3
	v_addc_co_u32_e32 v1, vcc, v8, v4, vcc
	v_add_co_u32_e32 v2, vcc, v0, v17
	v_addc_co_u32_e32 v3, vcc, v1, v18, vcc
	v_add_co_u32_e32 v17, vcc, v2, v19
	v_addc_co_u32_e32 v18, vcc, v3, v20, vcc
	v_add_co_u32_e32 v19, vcc, v17, v21
	v_addc_co_u32_e32 v20, vcc, v18, v22, vcc
	v_add_co_u32_e32 v21, vcc, v19, v23
	v_addc_co_u32_e32 v22, vcc, v20, v24, vcc
	v_add_co_u32_e32 v23, vcc, v21, v25
	v_addc_co_u32_e32 v24, vcc, v22, v26, vcc
	v_add_u32_e32 v4, v31, v32
	; wave barrier
	; wave barrier
	ds_write_b128 v4, v[27:30]
	ds_write_b128 v4, v[13:16] offset:16
	ds_write_b128 v4, v[9:12] offset:32
	;; [unrolled: 1-line block ×6, first 2 shown]
	s_waitcnt lgkmcnt(0)
	; wave barrier
	ds_read2st64_b64 v[20:23], v31 offset0:1 offset1:2
	ds_read2st64_b64 v[16:19], v31 offset0:3 offset1:4
	;; [unrolled: 1-line block ×6, first 2 shown]
	ds_read_b64 v[24:25], v31 offset:6656
	v_mov_b32_e32 v27, s43
	v_add_co_u32_e32 v26, vcc, s42, v31
	v_addc_co_u32_e32 v27, vcc, 0, v27, vcc
	s_and_saveexec_b64 s[28:29], s[0:1]
	s_cbranch_execnz .LBB20_55
; %bb.41:
	s_or_b64 exec, exec, s[28:29]
	s_and_saveexec_b64 s[0:1], s[2:3]
	s_cbranch_execnz .LBB20_56
.LBB20_42:
	s_or_b64 exec, exec, s[0:1]
	s_and_saveexec_b64 s[0:1], s[4:5]
	s_cbranch_execnz .LBB20_57
.LBB20_43:
	s_or_b64 exec, exec, s[0:1]
	s_and_saveexec_b64 s[0:1], s[6:7]
	s_cbranch_execnz .LBB20_58
.LBB20_44:
	s_or_b64 exec, exec, s[0:1]
	s_and_saveexec_b64 s[0:1], s[8:9]
	s_cbranch_execnz .LBB20_59
.LBB20_45:
	s_or_b64 exec, exec, s[0:1]
	s_and_saveexec_b64 s[0:1], s[10:11]
	s_cbranch_execnz .LBB20_60
.LBB20_46:
	s_or_b64 exec, exec, s[0:1]
	s_and_saveexec_b64 s[0:1], s[12:13]
	s_cbranch_execnz .LBB20_61
.LBB20_47:
	s_or_b64 exec, exec, s[0:1]
	s_and_saveexec_b64 s[0:1], s[14:15]
	s_cbranch_execnz .LBB20_62
.LBB20_48:
	s_or_b64 exec, exec, s[0:1]
	s_and_saveexec_b64 s[0:1], s[16:17]
	s_cbranch_execnz .LBB20_63
.LBB20_49:
	s_or_b64 exec, exec, s[0:1]
	s_and_saveexec_b64 s[0:1], s[18:19]
	s_cbranch_execnz .LBB20_64
.LBB20_50:
	s_or_b64 exec, exec, s[0:1]
	s_and_saveexec_b64 s[0:1], s[20:21]
	s_cbranch_execnz .LBB20_65
.LBB20_51:
	s_or_b64 exec, exec, s[0:1]
	s_and_saveexec_b64 s[0:1], s[22:23]
	s_cbranch_execnz .LBB20_66
.LBB20_52:
	s_or_b64 exec, exec, s[0:1]
	s_and_saveexec_b64 s[0:1], s[24:25]
	s_cbranch_execnz .LBB20_67
.LBB20_53:
	s_or_b64 exec, exec, s[0:1]
	s_and_saveexec_b64 s[0:1], s[26:27]
	s_cbranch_execnz .LBB20_68
.LBB20_54:
	s_endpgm
.LBB20_55:
	ds_read_b64 v[28:29], v31
	s_waitcnt lgkmcnt(0)
	global_store_dwordx2 v[26:27], v[28:29], off
	s_or_b64 exec, exec, s[28:29]
	s_and_saveexec_b64 s[0:1], s[2:3]
	s_cbranch_execz .LBB20_42
.LBB20_56:
	s_waitcnt lgkmcnt(6)
	global_store_dwordx2 v[26:27], v[20:21], off offset:512
	s_or_b64 exec, exec, s[0:1]
	s_and_saveexec_b64 s[0:1], s[4:5]
	s_cbranch_execz .LBB20_43
.LBB20_57:
	s_waitcnt lgkmcnt(6)
	global_store_dwordx2 v[26:27], v[22:23], off offset:1024
	s_or_b64 exec, exec, s[0:1]
	s_and_saveexec_b64 s[0:1], s[6:7]
	s_cbranch_execz .LBB20_44
.LBB20_58:
	s_waitcnt lgkmcnt(5)
	global_store_dwordx2 v[26:27], v[16:17], off offset:1536
	s_or_b64 exec, exec, s[0:1]
	s_and_saveexec_b64 s[0:1], s[8:9]
	s_cbranch_execz .LBB20_45
.LBB20_59:
	s_waitcnt lgkmcnt(5)
	global_store_dwordx2 v[26:27], v[18:19], off offset:2048
	s_or_b64 exec, exec, s[0:1]
	s_and_saveexec_b64 s[0:1], s[10:11]
	s_cbranch_execz .LBB20_46
.LBB20_60:
	s_waitcnt lgkmcnt(4)
	global_store_dwordx2 v[26:27], v[12:13], off offset:2560
	s_or_b64 exec, exec, s[0:1]
	s_and_saveexec_b64 s[0:1], s[12:13]
	s_cbranch_execz .LBB20_47
.LBB20_61:
	s_waitcnt lgkmcnt(4)
	global_store_dwordx2 v[26:27], v[14:15], off offset:3072
	s_or_b64 exec, exec, s[0:1]
	s_and_saveexec_b64 s[0:1], s[14:15]
	s_cbranch_execz .LBB20_48
.LBB20_62:
	s_waitcnt lgkmcnt(3)
	global_store_dwordx2 v[26:27], v[8:9], off offset:3584
	s_or_b64 exec, exec, s[0:1]
	s_and_saveexec_b64 s[0:1], s[16:17]
	s_cbranch_execz .LBB20_49
.LBB20_63:
	s_waitcnt lgkmcnt(3)
	v_add_co_u32_e32 v8, vcc, 0x1000, v26
	v_addc_co_u32_e32 v9, vcc, 0, v27, vcc
	global_store_dwordx2 v[8:9], v[10:11], off
	s_or_b64 exec, exec, s[0:1]
	s_and_saveexec_b64 s[0:1], s[18:19]
	s_cbranch_execz .LBB20_50
.LBB20_64:
	s_waitcnt lgkmcnt(3)
	v_add_co_u32_e32 v8, vcc, 0x1000, v26
	v_addc_co_u32_e32 v9, vcc, 0, v27, vcc
	s_waitcnt lgkmcnt(2)
	global_store_dwordx2 v[8:9], v[4:5], off offset:512
	s_or_b64 exec, exec, s[0:1]
	s_and_saveexec_b64 s[0:1], s[20:21]
	s_cbranch_execz .LBB20_51
.LBB20_65:
	s_waitcnt lgkmcnt(2)
	v_add_co_u32_e32 v4, vcc, 0x1000, v26
	v_addc_co_u32_e32 v5, vcc, 0, v27, vcc
	global_store_dwordx2 v[4:5], v[6:7], off offset:1024
	s_or_b64 exec, exec, s[0:1]
	s_and_saveexec_b64 s[0:1], s[22:23]
	s_cbranch_execz .LBB20_52
.LBB20_66:
	s_waitcnt lgkmcnt(2)
	v_add_co_u32_e32 v4, vcc, 0x1000, v26
	v_addc_co_u32_e32 v5, vcc, 0, v27, vcc
	s_waitcnt lgkmcnt(1)
	global_store_dwordx2 v[4:5], v[0:1], off offset:1536
	s_or_b64 exec, exec, s[0:1]
	s_and_saveexec_b64 s[0:1], s[24:25]
	s_cbranch_execz .LBB20_53
.LBB20_67:
	s_waitcnt lgkmcnt(1)
	v_add_co_u32_e32 v0, vcc, 0x1000, v26
	v_addc_co_u32_e32 v1, vcc, 0, v27, vcc
	global_store_dwordx2 v[0:1], v[2:3], off offset:2048
	s_or_b64 exec, exec, s[0:1]
	s_and_saveexec_b64 s[0:1], s[26:27]
	s_cbranch_execz .LBB20_54
.LBB20_68:
	s_waitcnt lgkmcnt(1)
	v_add_co_u32_e32 v0, vcc, 0x1000, v26
	v_addc_co_u32_e32 v1, vcc, 0, v27, vcc
	s_waitcnt lgkmcnt(0)
	global_store_dwordx2 v[0:1], v[24:25], off offset:2560
	s_endpgm
	.section	.rodata,"a",@progbits
	.p2align	6, 0x0
	.amdhsa_kernel _ZN7rocprim17ROCPRIM_304000_NS6detail18single_scan_kernelILb1ENS1_19wrapped_scan_configINS0_14default_configElEEPKlPlN2at4cuda3cub12_GLOBAL__N_15SumOpIlEEllEEvT1_mT4_T2_T3_
		.amdhsa_group_segment_fixed_size 7168
		.amdhsa_private_segment_fixed_size 0
		.amdhsa_kernarg_size 36
		.amdhsa_user_sgpr_count 6
		.amdhsa_user_sgpr_private_segment_buffer 1
		.amdhsa_user_sgpr_dispatch_ptr 0
		.amdhsa_user_sgpr_queue_ptr 0
		.amdhsa_user_sgpr_kernarg_segment_ptr 1
		.amdhsa_user_sgpr_dispatch_id 0
		.amdhsa_user_sgpr_flat_scratch_init 0
		.amdhsa_user_sgpr_private_segment_size 0
		.amdhsa_uses_dynamic_stack 0
		.amdhsa_system_sgpr_private_segment_wavefront_offset 0
		.amdhsa_system_sgpr_workgroup_id_x 1
		.amdhsa_system_sgpr_workgroup_id_y 0
		.amdhsa_system_sgpr_workgroup_id_z 0
		.amdhsa_system_sgpr_workgroup_info 0
		.amdhsa_system_vgpr_workitem_id 0
		.amdhsa_next_free_vgpr 65
		.amdhsa_next_free_sgpr 98
		.amdhsa_reserve_vcc 1
		.amdhsa_reserve_flat_scratch 0
		.amdhsa_float_round_mode_32 0
		.amdhsa_float_round_mode_16_64 0
		.amdhsa_float_denorm_mode_32 3
		.amdhsa_float_denorm_mode_16_64 3
		.amdhsa_dx10_clamp 1
		.amdhsa_ieee_mode 1
		.amdhsa_fp16_overflow 0
		.amdhsa_exception_fp_ieee_invalid_op 0
		.amdhsa_exception_fp_denorm_src 0
		.amdhsa_exception_fp_ieee_div_zero 0
		.amdhsa_exception_fp_ieee_overflow 0
		.amdhsa_exception_fp_ieee_underflow 0
		.amdhsa_exception_fp_ieee_inexact 0
		.amdhsa_exception_int_div_zero 0
	.end_amdhsa_kernel
	.section	.text._ZN7rocprim17ROCPRIM_304000_NS6detail18single_scan_kernelILb1ENS1_19wrapped_scan_configINS0_14default_configElEEPKlPlN2at4cuda3cub12_GLOBAL__N_15SumOpIlEEllEEvT1_mT4_T2_T3_,"axG",@progbits,_ZN7rocprim17ROCPRIM_304000_NS6detail18single_scan_kernelILb1ENS1_19wrapped_scan_configINS0_14default_configElEEPKlPlN2at4cuda3cub12_GLOBAL__N_15SumOpIlEEllEEvT1_mT4_T2_T3_,comdat
.Lfunc_end20:
	.size	_ZN7rocprim17ROCPRIM_304000_NS6detail18single_scan_kernelILb1ENS1_19wrapped_scan_configINS0_14default_configElEEPKlPlN2at4cuda3cub12_GLOBAL__N_15SumOpIlEEllEEvT1_mT4_T2_T3_, .Lfunc_end20-_ZN7rocprim17ROCPRIM_304000_NS6detail18single_scan_kernelILb1ENS1_19wrapped_scan_configINS0_14default_configElEEPKlPlN2at4cuda3cub12_GLOBAL__N_15SumOpIlEEllEEvT1_mT4_T2_T3_
                                        ; -- End function
	.set _ZN7rocprim17ROCPRIM_304000_NS6detail18single_scan_kernelILb1ENS1_19wrapped_scan_configINS0_14default_configElEEPKlPlN2at4cuda3cub12_GLOBAL__N_15SumOpIlEEllEEvT1_mT4_T2_T3_.num_vgpr, 36
	.set _ZN7rocprim17ROCPRIM_304000_NS6detail18single_scan_kernelILb1ENS1_19wrapped_scan_configINS0_14default_configElEEPKlPlN2at4cuda3cub12_GLOBAL__N_15SumOpIlEEllEEvT1_mT4_T2_T3_.num_agpr, 0
	.set _ZN7rocprim17ROCPRIM_304000_NS6detail18single_scan_kernelILb1ENS1_19wrapped_scan_configINS0_14default_configElEEPKlPlN2at4cuda3cub12_GLOBAL__N_15SumOpIlEEllEEvT1_mT4_T2_T3_.numbered_sgpr, 44
	.set _ZN7rocprim17ROCPRIM_304000_NS6detail18single_scan_kernelILb1ENS1_19wrapped_scan_configINS0_14default_configElEEPKlPlN2at4cuda3cub12_GLOBAL__N_15SumOpIlEEllEEvT1_mT4_T2_T3_.num_named_barrier, 0
	.set _ZN7rocprim17ROCPRIM_304000_NS6detail18single_scan_kernelILb1ENS1_19wrapped_scan_configINS0_14default_configElEEPKlPlN2at4cuda3cub12_GLOBAL__N_15SumOpIlEEllEEvT1_mT4_T2_T3_.private_seg_size, 0
	.set _ZN7rocprim17ROCPRIM_304000_NS6detail18single_scan_kernelILb1ENS1_19wrapped_scan_configINS0_14default_configElEEPKlPlN2at4cuda3cub12_GLOBAL__N_15SumOpIlEEllEEvT1_mT4_T2_T3_.uses_vcc, 1
	.set _ZN7rocprim17ROCPRIM_304000_NS6detail18single_scan_kernelILb1ENS1_19wrapped_scan_configINS0_14default_configElEEPKlPlN2at4cuda3cub12_GLOBAL__N_15SumOpIlEEllEEvT1_mT4_T2_T3_.uses_flat_scratch, 0
	.set _ZN7rocprim17ROCPRIM_304000_NS6detail18single_scan_kernelILb1ENS1_19wrapped_scan_configINS0_14default_configElEEPKlPlN2at4cuda3cub12_GLOBAL__N_15SumOpIlEEllEEvT1_mT4_T2_T3_.has_dyn_sized_stack, 0
	.set _ZN7rocprim17ROCPRIM_304000_NS6detail18single_scan_kernelILb1ENS1_19wrapped_scan_configINS0_14default_configElEEPKlPlN2at4cuda3cub12_GLOBAL__N_15SumOpIlEEllEEvT1_mT4_T2_T3_.has_recursion, 0
	.set _ZN7rocprim17ROCPRIM_304000_NS6detail18single_scan_kernelILb1ENS1_19wrapped_scan_configINS0_14default_configElEEPKlPlN2at4cuda3cub12_GLOBAL__N_15SumOpIlEEllEEvT1_mT4_T2_T3_.has_indirect_call, 0
	.section	.AMDGPU.csdata,"",@progbits
; Kernel info:
; codeLenInByte = 2220
; TotalNumSgprs: 48
; NumVgprs: 36
; ScratchSize: 0
; MemoryBound: 0
; FloatMode: 240
; IeeeMode: 1
; LDSByteSize: 7168 bytes/workgroup (compile time only)
; SGPRBlocks: 12
; VGPRBlocks: 16
; NumSGPRsForWavesPerEU: 102
; NumVGPRsForWavesPerEU: 65
; Occupancy: 3
; WaveLimiterHint : 0
; COMPUTE_PGM_RSRC2:SCRATCH_EN: 0
; COMPUTE_PGM_RSRC2:USER_SGPR: 6
; COMPUTE_PGM_RSRC2:TRAP_HANDLER: 0
; COMPUTE_PGM_RSRC2:TGID_X_EN: 1
; COMPUTE_PGM_RSRC2:TGID_Y_EN: 0
; COMPUTE_PGM_RSRC2:TGID_Z_EN: 0
; COMPUTE_PGM_RSRC2:TIDIG_COMP_CNT: 0
	.section	.text._ZN7rocprim17ROCPRIM_304000_NS6detail20lookback_scan_kernelILNS1_25lookback_scan_determinismE0ELb1ENS1_19wrapped_scan_configINS0_14default_configElEEN6hipcub22TransformInputIteratorIbN2at4cuda3cub12_GLOBAL__N_111CountMaskOpEPKhlEEPlNSC_5SumOpIlEEllNS1_19lookback_scan_stateIlLb1ELb1EEEEEvT2_T3_mT5_T4_T7_jPT6_SS_bb,"axG",@progbits,_ZN7rocprim17ROCPRIM_304000_NS6detail20lookback_scan_kernelILNS1_25lookback_scan_determinismE0ELb1ENS1_19wrapped_scan_configINS0_14default_configElEEN6hipcub22TransformInputIteratorIbN2at4cuda3cub12_GLOBAL__N_111CountMaskOpEPKhlEEPlNSC_5SumOpIlEEllNS1_19lookback_scan_stateIlLb1ELb1EEEEEvT2_T3_mT5_T4_T7_jPT6_SS_bb,comdat
	.globl	_ZN7rocprim17ROCPRIM_304000_NS6detail20lookback_scan_kernelILNS1_25lookback_scan_determinismE0ELb1ENS1_19wrapped_scan_configINS0_14default_configElEEN6hipcub22TransformInputIteratorIbN2at4cuda3cub12_GLOBAL__N_111CountMaskOpEPKhlEEPlNSC_5SumOpIlEEllNS1_19lookback_scan_stateIlLb1ELb1EEEEEvT2_T3_mT5_T4_T7_jPT6_SS_bb ; -- Begin function _ZN7rocprim17ROCPRIM_304000_NS6detail20lookback_scan_kernelILNS1_25lookback_scan_determinismE0ELb1ENS1_19wrapped_scan_configINS0_14default_configElEEN6hipcub22TransformInputIteratorIbN2at4cuda3cub12_GLOBAL__N_111CountMaskOpEPKhlEEPlNSC_5SumOpIlEEllNS1_19lookback_scan_stateIlLb1ELb1EEEEEvT2_T3_mT5_T4_T7_jPT6_SS_bb
	.p2align	8
	.type	_ZN7rocprim17ROCPRIM_304000_NS6detail20lookback_scan_kernelILNS1_25lookback_scan_determinismE0ELb1ENS1_19wrapped_scan_configINS0_14default_configElEEN6hipcub22TransformInputIteratorIbN2at4cuda3cub12_GLOBAL__N_111CountMaskOpEPKhlEEPlNSC_5SumOpIlEEllNS1_19lookback_scan_stateIlLb1ELb1EEEEEvT2_T3_mT5_T4_T7_jPT6_SS_bb,@function
_ZN7rocprim17ROCPRIM_304000_NS6detail20lookback_scan_kernelILNS1_25lookback_scan_determinismE0ELb1ENS1_19wrapped_scan_configINS0_14default_configElEEN6hipcub22TransformInputIteratorIbN2at4cuda3cub12_GLOBAL__N_111CountMaskOpEPKhlEEPlNSC_5SumOpIlEEllNS1_19lookback_scan_stateIlLb1ELb1EEEEEvT2_T3_mT5_T4_T7_jPT6_SS_bb: ; @_ZN7rocprim17ROCPRIM_304000_NS6detail20lookback_scan_kernelILNS1_25lookback_scan_determinismE0ELb1ENS1_19wrapped_scan_configINS0_14default_configElEEN6hipcub22TransformInputIteratorIbN2at4cuda3cub12_GLOBAL__N_111CountMaskOpEPKhlEEPlNSC_5SumOpIlEEllNS1_19lookback_scan_stateIlLb1ELb1EEEEEvT2_T3_mT5_T4_T7_jPT6_SS_bb
; %bb.0:
	s_endpgm
	.section	.rodata,"a",@progbits
	.p2align	6, 0x0
	.amdhsa_kernel _ZN7rocprim17ROCPRIM_304000_NS6detail20lookback_scan_kernelILNS1_25lookback_scan_determinismE0ELb1ENS1_19wrapped_scan_configINS0_14default_configElEEN6hipcub22TransformInputIteratorIbN2at4cuda3cub12_GLOBAL__N_111CountMaskOpEPKhlEEPlNSC_5SumOpIlEEllNS1_19lookback_scan_stateIlLb1ELb1EEEEEvT2_T3_mT5_T4_T7_jPT6_SS_bb
		.amdhsa_group_segment_fixed_size 0
		.amdhsa_private_segment_fixed_size 0
		.amdhsa_kernarg_size 84
		.amdhsa_user_sgpr_count 6
		.amdhsa_user_sgpr_private_segment_buffer 1
		.amdhsa_user_sgpr_dispatch_ptr 0
		.amdhsa_user_sgpr_queue_ptr 0
		.amdhsa_user_sgpr_kernarg_segment_ptr 1
		.amdhsa_user_sgpr_dispatch_id 0
		.amdhsa_user_sgpr_flat_scratch_init 0
		.amdhsa_user_sgpr_private_segment_size 0
		.amdhsa_uses_dynamic_stack 0
		.amdhsa_system_sgpr_private_segment_wavefront_offset 0
		.amdhsa_system_sgpr_workgroup_id_x 1
		.amdhsa_system_sgpr_workgroup_id_y 0
		.amdhsa_system_sgpr_workgroup_id_z 0
		.amdhsa_system_sgpr_workgroup_info 0
		.amdhsa_system_vgpr_workitem_id 0
		.amdhsa_next_free_vgpr 1
		.amdhsa_next_free_sgpr 0
		.amdhsa_reserve_vcc 0
		.amdhsa_reserve_flat_scratch 0
		.amdhsa_float_round_mode_32 0
		.amdhsa_float_round_mode_16_64 0
		.amdhsa_float_denorm_mode_32 3
		.amdhsa_float_denorm_mode_16_64 3
		.amdhsa_dx10_clamp 1
		.amdhsa_ieee_mode 1
		.amdhsa_fp16_overflow 0
		.amdhsa_exception_fp_ieee_invalid_op 0
		.amdhsa_exception_fp_denorm_src 0
		.amdhsa_exception_fp_ieee_div_zero 0
		.amdhsa_exception_fp_ieee_overflow 0
		.amdhsa_exception_fp_ieee_underflow 0
		.amdhsa_exception_fp_ieee_inexact 0
		.amdhsa_exception_int_div_zero 0
	.end_amdhsa_kernel
	.section	.text._ZN7rocprim17ROCPRIM_304000_NS6detail20lookback_scan_kernelILNS1_25lookback_scan_determinismE0ELb1ENS1_19wrapped_scan_configINS0_14default_configElEEN6hipcub22TransformInputIteratorIbN2at4cuda3cub12_GLOBAL__N_111CountMaskOpEPKhlEEPlNSC_5SumOpIlEEllNS1_19lookback_scan_stateIlLb1ELb1EEEEEvT2_T3_mT5_T4_T7_jPT6_SS_bb,"axG",@progbits,_ZN7rocprim17ROCPRIM_304000_NS6detail20lookback_scan_kernelILNS1_25lookback_scan_determinismE0ELb1ENS1_19wrapped_scan_configINS0_14default_configElEEN6hipcub22TransformInputIteratorIbN2at4cuda3cub12_GLOBAL__N_111CountMaskOpEPKhlEEPlNSC_5SumOpIlEEllNS1_19lookback_scan_stateIlLb1ELb1EEEEEvT2_T3_mT5_T4_T7_jPT6_SS_bb,comdat
.Lfunc_end21:
	.size	_ZN7rocprim17ROCPRIM_304000_NS6detail20lookback_scan_kernelILNS1_25lookback_scan_determinismE0ELb1ENS1_19wrapped_scan_configINS0_14default_configElEEN6hipcub22TransformInputIteratorIbN2at4cuda3cub12_GLOBAL__N_111CountMaskOpEPKhlEEPlNSC_5SumOpIlEEllNS1_19lookback_scan_stateIlLb1ELb1EEEEEvT2_T3_mT5_T4_T7_jPT6_SS_bb, .Lfunc_end21-_ZN7rocprim17ROCPRIM_304000_NS6detail20lookback_scan_kernelILNS1_25lookback_scan_determinismE0ELb1ENS1_19wrapped_scan_configINS0_14default_configElEEN6hipcub22TransformInputIteratorIbN2at4cuda3cub12_GLOBAL__N_111CountMaskOpEPKhlEEPlNSC_5SumOpIlEEllNS1_19lookback_scan_stateIlLb1ELb1EEEEEvT2_T3_mT5_T4_T7_jPT6_SS_bb
                                        ; -- End function
	.set _ZN7rocprim17ROCPRIM_304000_NS6detail20lookback_scan_kernelILNS1_25lookback_scan_determinismE0ELb1ENS1_19wrapped_scan_configINS0_14default_configElEEN6hipcub22TransformInputIteratorIbN2at4cuda3cub12_GLOBAL__N_111CountMaskOpEPKhlEEPlNSC_5SumOpIlEEllNS1_19lookback_scan_stateIlLb1ELb1EEEEEvT2_T3_mT5_T4_T7_jPT6_SS_bb.num_vgpr, 0
	.set _ZN7rocprim17ROCPRIM_304000_NS6detail20lookback_scan_kernelILNS1_25lookback_scan_determinismE0ELb1ENS1_19wrapped_scan_configINS0_14default_configElEEN6hipcub22TransformInputIteratorIbN2at4cuda3cub12_GLOBAL__N_111CountMaskOpEPKhlEEPlNSC_5SumOpIlEEllNS1_19lookback_scan_stateIlLb1ELb1EEEEEvT2_T3_mT5_T4_T7_jPT6_SS_bb.num_agpr, 0
	.set _ZN7rocprim17ROCPRIM_304000_NS6detail20lookback_scan_kernelILNS1_25lookback_scan_determinismE0ELb1ENS1_19wrapped_scan_configINS0_14default_configElEEN6hipcub22TransformInputIteratorIbN2at4cuda3cub12_GLOBAL__N_111CountMaskOpEPKhlEEPlNSC_5SumOpIlEEllNS1_19lookback_scan_stateIlLb1ELb1EEEEEvT2_T3_mT5_T4_T7_jPT6_SS_bb.numbered_sgpr, 0
	.set _ZN7rocprim17ROCPRIM_304000_NS6detail20lookback_scan_kernelILNS1_25lookback_scan_determinismE0ELb1ENS1_19wrapped_scan_configINS0_14default_configElEEN6hipcub22TransformInputIteratorIbN2at4cuda3cub12_GLOBAL__N_111CountMaskOpEPKhlEEPlNSC_5SumOpIlEEllNS1_19lookback_scan_stateIlLb1ELb1EEEEEvT2_T3_mT5_T4_T7_jPT6_SS_bb.num_named_barrier, 0
	.set _ZN7rocprim17ROCPRIM_304000_NS6detail20lookback_scan_kernelILNS1_25lookback_scan_determinismE0ELb1ENS1_19wrapped_scan_configINS0_14default_configElEEN6hipcub22TransformInputIteratorIbN2at4cuda3cub12_GLOBAL__N_111CountMaskOpEPKhlEEPlNSC_5SumOpIlEEllNS1_19lookback_scan_stateIlLb1ELb1EEEEEvT2_T3_mT5_T4_T7_jPT6_SS_bb.private_seg_size, 0
	.set _ZN7rocprim17ROCPRIM_304000_NS6detail20lookback_scan_kernelILNS1_25lookback_scan_determinismE0ELb1ENS1_19wrapped_scan_configINS0_14default_configElEEN6hipcub22TransformInputIteratorIbN2at4cuda3cub12_GLOBAL__N_111CountMaskOpEPKhlEEPlNSC_5SumOpIlEEllNS1_19lookback_scan_stateIlLb1ELb1EEEEEvT2_T3_mT5_T4_T7_jPT6_SS_bb.uses_vcc, 0
	.set _ZN7rocprim17ROCPRIM_304000_NS6detail20lookback_scan_kernelILNS1_25lookback_scan_determinismE0ELb1ENS1_19wrapped_scan_configINS0_14default_configElEEN6hipcub22TransformInputIteratorIbN2at4cuda3cub12_GLOBAL__N_111CountMaskOpEPKhlEEPlNSC_5SumOpIlEEllNS1_19lookback_scan_stateIlLb1ELb1EEEEEvT2_T3_mT5_T4_T7_jPT6_SS_bb.uses_flat_scratch, 0
	.set _ZN7rocprim17ROCPRIM_304000_NS6detail20lookback_scan_kernelILNS1_25lookback_scan_determinismE0ELb1ENS1_19wrapped_scan_configINS0_14default_configElEEN6hipcub22TransformInputIteratorIbN2at4cuda3cub12_GLOBAL__N_111CountMaskOpEPKhlEEPlNSC_5SumOpIlEEllNS1_19lookback_scan_stateIlLb1ELb1EEEEEvT2_T3_mT5_T4_T7_jPT6_SS_bb.has_dyn_sized_stack, 0
	.set _ZN7rocprim17ROCPRIM_304000_NS6detail20lookback_scan_kernelILNS1_25lookback_scan_determinismE0ELb1ENS1_19wrapped_scan_configINS0_14default_configElEEN6hipcub22TransformInputIteratorIbN2at4cuda3cub12_GLOBAL__N_111CountMaskOpEPKhlEEPlNSC_5SumOpIlEEllNS1_19lookback_scan_stateIlLb1ELb1EEEEEvT2_T3_mT5_T4_T7_jPT6_SS_bb.has_recursion, 0
	.set _ZN7rocprim17ROCPRIM_304000_NS6detail20lookback_scan_kernelILNS1_25lookback_scan_determinismE0ELb1ENS1_19wrapped_scan_configINS0_14default_configElEEN6hipcub22TransformInputIteratorIbN2at4cuda3cub12_GLOBAL__N_111CountMaskOpEPKhlEEPlNSC_5SumOpIlEEllNS1_19lookback_scan_stateIlLb1ELb1EEEEEvT2_T3_mT5_T4_T7_jPT6_SS_bb.has_indirect_call, 0
	.section	.AMDGPU.csdata,"",@progbits
; Kernel info:
; codeLenInByte = 4
; TotalNumSgprs: 4
; NumVgprs: 0
; ScratchSize: 0
; MemoryBound: 0
; FloatMode: 240
; IeeeMode: 1
; LDSByteSize: 0 bytes/workgroup (compile time only)
; SGPRBlocks: 0
; VGPRBlocks: 0
; NumSGPRsForWavesPerEU: 4
; NumVGPRsForWavesPerEU: 1
; Occupancy: 10
; WaveLimiterHint : 0
; COMPUTE_PGM_RSRC2:SCRATCH_EN: 0
; COMPUTE_PGM_RSRC2:USER_SGPR: 6
; COMPUTE_PGM_RSRC2:TRAP_HANDLER: 0
; COMPUTE_PGM_RSRC2:TGID_X_EN: 1
; COMPUTE_PGM_RSRC2:TGID_Y_EN: 0
; COMPUTE_PGM_RSRC2:TGID_Z_EN: 0
; COMPUTE_PGM_RSRC2:TIDIG_COMP_CNT: 0
	.section	.text._ZN7rocprim17ROCPRIM_304000_NS6detail20lookback_scan_kernelILNS1_25lookback_scan_determinismE0ELb1ENS1_19wrapped_scan_configINS0_14default_configElEEN6hipcub22TransformInputIteratorIbN2at4cuda3cub12_GLOBAL__N_111CountMaskOpEPKhlEEPlNSC_5SumOpIlEEllNS1_19lookback_scan_stateIlLb0ELb1EEEEEvT2_T3_mT5_T4_T7_jPT6_SS_bb,"axG",@progbits,_ZN7rocprim17ROCPRIM_304000_NS6detail20lookback_scan_kernelILNS1_25lookback_scan_determinismE0ELb1ENS1_19wrapped_scan_configINS0_14default_configElEEN6hipcub22TransformInputIteratorIbN2at4cuda3cub12_GLOBAL__N_111CountMaskOpEPKhlEEPlNSC_5SumOpIlEEllNS1_19lookback_scan_stateIlLb0ELb1EEEEEvT2_T3_mT5_T4_T7_jPT6_SS_bb,comdat
	.globl	_ZN7rocprim17ROCPRIM_304000_NS6detail20lookback_scan_kernelILNS1_25lookback_scan_determinismE0ELb1ENS1_19wrapped_scan_configINS0_14default_configElEEN6hipcub22TransformInputIteratorIbN2at4cuda3cub12_GLOBAL__N_111CountMaskOpEPKhlEEPlNSC_5SumOpIlEEllNS1_19lookback_scan_stateIlLb0ELb1EEEEEvT2_T3_mT5_T4_T7_jPT6_SS_bb ; -- Begin function _ZN7rocprim17ROCPRIM_304000_NS6detail20lookback_scan_kernelILNS1_25lookback_scan_determinismE0ELb1ENS1_19wrapped_scan_configINS0_14default_configElEEN6hipcub22TransformInputIteratorIbN2at4cuda3cub12_GLOBAL__N_111CountMaskOpEPKhlEEPlNSC_5SumOpIlEEllNS1_19lookback_scan_stateIlLb0ELb1EEEEEvT2_T3_mT5_T4_T7_jPT6_SS_bb
	.p2align	8
	.type	_ZN7rocprim17ROCPRIM_304000_NS6detail20lookback_scan_kernelILNS1_25lookback_scan_determinismE0ELb1ENS1_19wrapped_scan_configINS0_14default_configElEEN6hipcub22TransformInputIteratorIbN2at4cuda3cub12_GLOBAL__N_111CountMaskOpEPKhlEEPlNSC_5SumOpIlEEllNS1_19lookback_scan_stateIlLb0ELb1EEEEEvT2_T3_mT5_T4_T7_jPT6_SS_bb,@function
_ZN7rocprim17ROCPRIM_304000_NS6detail20lookback_scan_kernelILNS1_25lookback_scan_determinismE0ELb1ENS1_19wrapped_scan_configINS0_14default_configElEEN6hipcub22TransformInputIteratorIbN2at4cuda3cub12_GLOBAL__N_111CountMaskOpEPKhlEEPlNSC_5SumOpIlEEllNS1_19lookback_scan_stateIlLb0ELb1EEEEEvT2_T3_mT5_T4_T7_jPT6_SS_bb: ; @_ZN7rocprim17ROCPRIM_304000_NS6detail20lookback_scan_kernelILNS1_25lookback_scan_determinismE0ELb1ENS1_19wrapped_scan_configINS0_14default_configElEEN6hipcub22TransformInputIteratorIbN2at4cuda3cub12_GLOBAL__N_111CountMaskOpEPKhlEEPlNSC_5SumOpIlEEllNS1_19lookback_scan_stateIlLb0ELb1EEEEEvT2_T3_mT5_T4_T7_jPT6_SS_bb
; %bb.0:
	s_load_dword s0, s[4:5], 0x38
	s_load_dwordx2 s[14:15], s[4:5], 0x0
	s_load_dwordx4 s[8:11], s[4:5], 0x10
	s_mul_i32 s12, s6, 0x380
	s_mov_b32 s13, 0
	s_waitcnt lgkmcnt(0)
	s_add_i32 s0, s0, -1
	s_mul_i32 s1, s0, 0x380
	s_sub_u32 s22, s10, s1
	s_subb_u32 s23, s11, 0
	s_cmp_lg_u32 s6, s0
	s_cselect_b64 s[10:11], -1, 0
	s_add_u32 s2, s14, s12
	s_addc_u32 s3, s15, 0
	s_mov_b64 s[0:1], -1
	s_and_b64 vcc, exec, s[10:11]
	v_lshlrev_b32_e32 v43, 3, v0
	s_cbranch_vccz .LBB22_2
; %bb.1:
	global_load_ubyte v1, v0, s[2:3]
	global_load_ubyte v3, v0, s[2:3] offset:64
	global_load_ubyte v5, v0, s[2:3] offset:128
	;; [unrolled: 1-line block ×13, first 2 shown]
	v_mov_b32_e32 v2, s13
	v_mov_b32_e32 v4, s13
	v_mov_b32_e32 v6, s13
	v_mov_b32_e32 v8, s13
	v_mov_b32_e32 v10, s13
	v_mov_b32_e32 v12, s13
	v_mov_b32_e32 v14, s13
	v_mov_b32_e32 v16, s13
	v_mov_b32_e32 v18, s13
	v_mov_b32_e32 v20, s13
	v_mov_b32_e32 v22, s13
	v_mov_b32_e32 v24, s13
	v_mov_b32_e32 v26, s13
	v_mov_b32_e32 v28, s13
	s_mov_b64 s[0:1], 0
	s_waitcnt vmcnt(13)
	v_cmp_ne_u16_e32 vcc, 0, v1
	v_cndmask_b32_e64 v1, 0, 1, vcc
	s_waitcnt vmcnt(12)
	v_cmp_ne_u16_e32 vcc, 0, v3
	v_cndmask_b32_e64 v3, 0, 1, vcc
	;; [unrolled: 3-line block ×14, first 2 shown]
	ds_write2st64_b64 v43, v[1:2], v[3:4] offset1:1
	ds_write2st64_b64 v43, v[5:6], v[7:8] offset0:2 offset1:3
	ds_write2st64_b64 v43, v[9:10], v[11:12] offset0:4 offset1:5
	;; [unrolled: 1-line block ×6, first 2 shown]
	s_waitcnt lgkmcnt(0)
	; wave barrier
.LBB22_2:
	s_load_dwordx2 s[16:17], s[4:5], 0x20
	s_andn2_b64 vcc, exec, s[0:1]
	v_cmp_gt_u32_e64 s[0:1], s22, v0
	s_cbranch_vccnz .LBB22_32
; %bb.3:
	v_mov_b32_e32 v1, 0
	global_load_ubyte v1, v1, s[2:3]
	s_mov_b32 s7, 0
	v_mov_b32_e32 v3, s3
	v_mov_b32_e32 v2, s7
	s_waitcnt vmcnt(0)
	v_cmp_ne_u32_e32 vcc, 0, v1
	v_cndmask_b32_e64 v1, 0, 1, vcc
	v_add_co_u32_e32 v5, vcc, s2, v0
	v_addc_co_u32_e32 v6, vcc, 0, v3, vcc
	v_mov_b32_e32 v4, v2
	v_mov_b32_e32 v3, v1
	s_and_saveexec_b64 s[2:3], s[0:1]
	s_cbranch_execz .LBB22_5
; %bb.4:
	global_load_ubyte v3, v[5:6], off
	v_mov_b32_e32 v4, s7
	s_waitcnt vmcnt(0)
	v_cmp_ne_u16_e32 vcc, 0, v3
	v_cndmask_b32_e64 v3, 0, 1, vcc
.LBB22_5:
	s_or_b64 exec, exec, s[2:3]
	v_or_b32_e32 v7, 64, v0
	v_cmp_gt_u32_e32 vcc, s22, v7
	v_mov_b32_e32 v8, v2
	v_mov_b32_e32 v7, v1
	s_and_saveexec_b64 s[0:1], vcc
	s_cbranch_execz .LBB22_7
; %bb.6:
	global_load_ubyte v7, v[5:6], off offset:64
	s_mov_b32 s2, 0
	v_mov_b32_e32 v8, s2
	s_waitcnt vmcnt(0)
	v_cmp_ne_u16_e32 vcc, 0, v7
	v_cndmask_b32_e64 v7, 0, 1, vcc
.LBB22_7:
	s_or_b64 exec, exec, s[0:1]
	v_or_b32_e32 v9, 0x80, v0
	v_cmp_gt_u32_e32 vcc, s22, v9
	v_mov_b32_e32 v10, v2
	v_mov_b32_e32 v9, v1
	s_and_saveexec_b64 s[0:1], vcc
	s_cbranch_execz .LBB22_9
; %bb.8:
	global_load_ubyte v9, v[5:6], off offset:128
	s_mov_b32 s2, 0
	v_mov_b32_e32 v10, s2
	s_waitcnt vmcnt(0)
	v_cmp_ne_u16_e32 vcc, 0, v9
	v_cndmask_b32_e64 v9, 0, 1, vcc
.LBB22_9:
	;; [unrolled: 15-line block ×12, first 2 shown]
	s_or_b64 exec, exec, s[0:1]
	v_or_b32_e32 v31, 0x340, v0
	v_cmp_gt_u32_e32 vcc, s22, v31
	s_and_saveexec_b64 s[0:1], vcc
	s_cbranch_execz .LBB22_31
; %bb.30:
	global_load_ubyte v1, v[5:6], off offset:832
	s_mov_b32 s2, 0
	v_mov_b32_e32 v2, s2
	s_waitcnt vmcnt(0)
	v_cmp_ne_u16_e32 vcc, 0, v1
	v_cndmask_b32_e64 v1, 0, 1, vcc
.LBB22_31:
	s_or_b64 exec, exec, s[0:1]
	ds_write2st64_b64 v43, v[3:4], v[7:8] offset1:1
	ds_write2st64_b64 v43, v[9:10], v[11:12] offset0:2 offset1:3
	ds_write2st64_b64 v43, v[13:14], v[15:16] offset0:4 offset1:5
	ds_write2st64_b64 v43, v[17:18], v[19:20] offset0:6 offset1:7
	ds_write2st64_b64 v43, v[21:22], v[23:24] offset0:8 offset1:9
	ds_write2st64_b64 v43, v[25:26], v[27:28] offset0:10 offset1:11
	ds_write2st64_b64 v43, v[29:30], v[1:2] offset0:12 offset1:13
	s_waitcnt lgkmcnt(0)
	; wave barrier
.LBB22_32:
	v_mul_u32_u24_e32 v44, 0x70, v0
	s_waitcnt lgkmcnt(0)
	ds_read_b128 v[25:28], v44
	ds_read_b128 v[21:24], v44 offset:16
	ds_read_b128 v[17:20], v44 offset:32
	;; [unrolled: 1-line block ×6, first 2 shown]
	s_load_dwordx2 s[18:19], s[4:5], 0x30
	s_cmp_lg_u32 s6, 0
	v_mbcnt_lo_u32_b32 v45, -1, 0
	s_waitcnt lgkmcnt(0)
	; wave barrier
	s_cbranch_scc0 .LBB22_86
; %bb.33:
	v_add_co_u32_e32 v29, vcc, v27, v25
	v_addc_co_u32_e32 v30, vcc, v28, v26, vcc
	v_add_co_u32_e32 v29, vcc, v29, v21
	v_addc_co_u32_e32 v30, vcc, v30, v22, vcc
	;; [unrolled: 2-line block ×13, first 2 shown]
	v_mbcnt_hi_u32_b32 v40, -1, v45
	v_and_b32_e32 v33, 15, v40
	v_mov_b32_e32 v32, v30
	v_mov_b32_dpp v35, v29 row_shr:1 row_mask:0xf bank_mask:0xf
	v_mov_b32_dpp v34, v30 row_shr:1 row_mask:0xf bank_mask:0xf
	v_cmp_ne_u32_e32 vcc, 0, v33
	v_mov_b32_e32 v31, v29
	s_and_saveexec_b64 s[0:1], vcc
; %bb.34:
	v_add_co_u32_e32 v29, vcc, v29, v35
	v_addc_co_u32_e32 v30, vcc, 0, v30, vcc
	v_add_co_u32_e32 v31, vcc, 0, v29
	v_addc_co_u32_e32 v32, vcc, v34, v30, vcc
	v_mov_b32_e32 v30, v32
; %bb.35:
	s_or_b64 exec, exec, s[0:1]
	v_mov_b32_dpp v35, v29 row_shr:2 row_mask:0xf bank_mask:0xf
	v_mov_b32_dpp v34, v30 row_shr:2 row_mask:0xf bank_mask:0xf
	v_cmp_lt_u32_e32 vcc, 1, v33
	s_and_saveexec_b64 s[0:1], vcc
; %bb.36:
	v_add_co_u32_e32 v29, vcc, v31, v35
	v_addc_co_u32_e32 v30, vcc, 0, v32, vcc
	v_add_co_u32_e32 v31, vcc, 0, v29
	v_addc_co_u32_e32 v32, vcc, v34, v30, vcc
	v_mov_b32_e32 v30, v32
; %bb.37:
	s_or_b64 exec, exec, s[0:1]
	v_mov_b32_dpp v35, v29 row_shr:4 row_mask:0xf bank_mask:0xf
	v_mov_b32_dpp v34, v30 row_shr:4 row_mask:0xf bank_mask:0xf
	v_cmp_lt_u32_e32 vcc, 3, v33
	;; [unrolled: 12-line block ×3, first 2 shown]
	s_and_saveexec_b64 s[0:1], vcc
; %bb.40:
	v_add_co_u32_e32 v29, vcc, v31, v35
	v_addc_co_u32_e32 v30, vcc, 0, v32, vcc
	v_add_co_u32_e32 v31, vcc, 0, v29
	v_addc_co_u32_e32 v32, vcc, v34, v30, vcc
	v_mov_b32_e32 v30, v32
; %bb.41:
	s_or_b64 exec, exec, s[0:1]
	v_and_b32_e32 v35, 16, v40
	v_mov_b32_dpp v34, v29 row_bcast:15 row_mask:0xf bank_mask:0xf
	v_mov_b32_dpp v33, v30 row_bcast:15 row_mask:0xf bank_mask:0xf
	v_cmp_ne_u32_e32 vcc, 0, v35
	s_and_saveexec_b64 s[0:1], vcc
; %bb.42:
	v_add_co_u32_e32 v29, vcc, v31, v34
	v_addc_co_u32_e32 v30, vcc, 0, v32, vcc
	v_add_co_u32_e32 v31, vcc, 0, v29
	v_addc_co_u32_e32 v32, vcc, v33, v30, vcc
	v_mov_b32_e32 v30, v32
; %bb.43:
	s_or_b64 exec, exec, s[0:1]
	v_mov_b32_dpp v34, v29 row_bcast:31 row_mask:0xf bank_mask:0xf
	v_mov_b32_dpp v33, v30 row_bcast:31 row_mask:0xf bank_mask:0xf
	v_cmp_lt_u32_e32 vcc, 31, v40
	s_and_saveexec_b64 s[0:1], vcc
; %bb.44:
	v_add_co_u32_e32 v29, vcc, v31, v34
	v_addc_co_u32_e32 v30, vcc, 0, v32, vcc
	v_add_co_u32_e32 v31, vcc, 0, v29
	v_addc_co_u32_e32 v32, vcc, v33, v30, vcc
	v_mov_b32_e32 v30, v32
; %bb.45:
	s_or_b64 exec, exec, s[0:1]
	v_cmp_eq_u32_e32 vcc, 63, v0
	s_and_saveexec_b64 s[0:1], vcc
; %bb.46:
	v_mov_b32_e32 v33, 0
	ds_write_b64 v33, v[31:32]
; %bb.47:
	s_or_b64 exec, exec, s[0:1]
	v_subrev_co_u32_e64 v31, s[0:1], 1, v40
	v_and_b32_e32 v32, 64, v40
	v_cmp_lt_i32_e32 vcc, v31, v32
	v_cndmask_b32_e32 v31, v31, v40, vcc
	v_lshlrev_b32_e32 v31, 2, v31
	v_mov_b32_e32 v32, 0
	s_waitcnt lgkmcnt(0)
	; wave barrier
	ds_bpermute_b32 v46, v31, v29
	ds_bpermute_b32 v47, v31, v30
	ds_read_b64 v[29:30], v32
	s_and_saveexec_b64 s[2:3], s[0:1]
	s_cbranch_execz .LBB22_49
; %bb.48:
	s_add_i32 s20, s6, 64
	s_mov_b32 s21, 0
	s_lshl_b64 s[20:21], s[20:21], 4
	s_add_u32 s20, s18, s20
	s_addc_u32 s21, s19, s21
	v_mov_b32_e32 v34, s21
	v_mov_b32_e32 v31, 1
	;; [unrolled: 1-line block ×3, first 2 shown]
	s_waitcnt lgkmcnt(0)
	;;#ASMSTART
	global_store_dwordx4 v[33:34], v[29:32] off	
s_waitcnt vmcnt(0)
	;;#ASMEND
.LBB22_49:
	s_or_b64 exec, exec, s[2:3]
	v_xad_u32 v37, v40, -1, s6
	v_add_u32_e32 v31, 64, v37
	v_lshlrev_b64 v[33:34], 4, v[31:32]
	v_mov_b32_e32 v31, s19
	v_add_co_u32_e32 v38, vcc, s18, v33
	v_addc_co_u32_e32 v39, vcc, v31, v34, vcc
	;;#ASMSTART
	global_load_dwordx4 v[33:36], v[38:39] off glc	
s_waitcnt vmcnt(0)
	;;#ASMEND
	v_cmp_eq_u16_sdwa s[20:21], v35, v32 src0_sel:BYTE_0 src1_sel:DWORD
	s_and_saveexec_b64 s[2:3], s[20:21]
	s_cbranch_execz .LBB22_53
; %bb.50:
	s_mov_b64 s[20:21], 0
	v_mov_b32_e32 v31, 0
.LBB22_51:                              ; =>This Inner Loop Header: Depth=1
	;;#ASMSTART
	global_load_dwordx4 v[33:36], v[38:39] off glc	
s_waitcnt vmcnt(0)
	;;#ASMEND
	v_cmp_ne_u16_sdwa s[24:25], v35, v31 src0_sel:BYTE_0 src1_sel:DWORD
	s_or_b64 s[20:21], s[24:25], s[20:21]
	s_andn2_b64 exec, exec, s[20:21]
	s_cbranch_execnz .LBB22_51
; %bb.52:
	s_or_b64 exec, exec, s[20:21]
.LBB22_53:
	s_or_b64 exec, exec, s[2:3]
	v_and_b32_e32 v39, 63, v40
	v_mov_b32_e32 v36, 2
	v_lshlrev_b64 v[31:32], v40, -1
	v_cmp_ne_u32_e32 vcc, 63, v39
	v_cmp_eq_u16_sdwa s[2:3], v35, v36 src0_sel:BYTE_0 src1_sel:DWORD
	v_addc_co_u32_e32 v41, vcc, 0, v40, vcc
	v_and_b32_e32 v36, s3, v32
	v_lshlrev_b32_e32 v48, 2, v41
	v_or_b32_e32 v36, 0x80000000, v36
	ds_bpermute_b32 v42, v48, v33
	ds_bpermute_b32 v41, v48, v34
	v_and_b32_e32 v38, s2, v31
	v_ffbl_b32_e32 v36, v36
	v_add_u32_e32 v36, 32, v36
	v_ffbl_b32_e32 v38, v38
	v_min_u32_e32 v36, v38, v36
	v_add_u32_e32 v49, 1, v40
	v_cmp_le_u32_e32 vcc, v49, v36
	v_mov_b32_e32 v38, v33
	s_and_saveexec_b64 s[2:3], vcc
	s_cbranch_execz .LBB22_55
; %bb.54:
	s_waitcnt lgkmcnt(1)
	v_add_co_u32_e32 v38, vcc, v33, v42
	v_addc_co_u32_e32 v34, vcc, 0, v34, vcc
	v_add_co_u32_e32 v33, vcc, 0, v38
	s_waitcnt lgkmcnt(0)
	v_addc_co_u32_e32 v34, vcc, v41, v34, vcc
.LBB22_55:
	s_or_b64 exec, exec, s[2:3]
	v_cmp_gt_u32_e32 vcc, 62, v39
	s_waitcnt lgkmcnt(0)
	v_cndmask_b32_e64 v41, 0, 2, vcc
	v_add_lshl_u32 v50, v41, v40, 2
	ds_bpermute_b32 v42, v50, v38
	ds_bpermute_b32 v41, v50, v34
	v_add_u32_e32 v51, 2, v40
	v_cmp_le_u32_e32 vcc, v51, v36
	s_and_saveexec_b64 s[2:3], vcc
	s_cbranch_execz .LBB22_57
; %bb.56:
	s_waitcnt lgkmcnt(1)
	v_add_co_u32_e32 v38, vcc, v33, v42
	v_addc_co_u32_e32 v34, vcc, 0, v34, vcc
	v_add_co_u32_e32 v33, vcc, 0, v38
	s_waitcnt lgkmcnt(0)
	v_addc_co_u32_e32 v34, vcc, v41, v34, vcc
.LBB22_57:
	s_or_b64 exec, exec, s[2:3]
	v_cmp_gt_u32_e32 vcc, 60, v39
	s_waitcnt lgkmcnt(0)
	v_cndmask_b32_e64 v41, 0, 4, vcc
	v_add_lshl_u32 v52, v41, v40, 2
	ds_bpermute_b32 v42, v52, v38
	ds_bpermute_b32 v41, v52, v34
	v_add_u32_e32 v53, 4, v40
	v_cmp_le_u32_e32 vcc, v53, v36
	;; [unrolled: 19-line block ×3, first 2 shown]
	s_and_saveexec_b64 s[2:3], vcc
	s_cbranch_execz .LBB22_61
; %bb.60:
	s_waitcnt lgkmcnt(1)
	v_add_co_u32_e32 v38, vcc, v33, v42
	v_addc_co_u32_e32 v34, vcc, 0, v34, vcc
	v_add_co_u32_e32 v33, vcc, 0, v38
	s_waitcnt lgkmcnt(0)
	v_addc_co_u32_e32 v34, vcc, v41, v34, vcc
.LBB22_61:
	s_or_b64 exec, exec, s[2:3]
	v_cmp_gt_u32_e32 vcc, 48, v39
	v_cndmask_b32_e64 v39, 0, 16, vcc
	v_add_lshl_u32 v56, v39, v40, 2
	s_waitcnt lgkmcnt(0)
	ds_bpermute_b32 v41, v56, v38
	ds_bpermute_b32 v39, v56, v34
	v_add_u32_e32 v57, 16, v40
	v_cmp_le_u32_e32 vcc, v57, v36
	s_and_saveexec_b64 s[2:3], vcc
	s_cbranch_execz .LBB22_63
; %bb.62:
	s_waitcnt lgkmcnt(1)
	v_add_co_u32_e32 v38, vcc, v33, v41
	v_addc_co_u32_e32 v34, vcc, 0, v34, vcc
	v_add_co_u32_e32 v33, vcc, 0, v38
	s_waitcnt lgkmcnt(0)
	v_addc_co_u32_e32 v34, vcc, v39, v34, vcc
.LBB22_63:
	s_or_b64 exec, exec, s[2:3]
	s_waitcnt lgkmcnt(0)
	v_mov_b32_e32 v39, 0x80
	v_lshl_or_b32 v58, v40, 2, v39
	ds_bpermute_b32 v39, v58, v38
	v_add_u32_e32 v59, 32, v40
	ds_bpermute_b32 v40, v58, v34
	v_mov_b32_e32 v38, 0
	v_mov_b32_e32 v60, 2
	s_waitcnt lgkmcnt(1)
	v_add_co_u32_e32 v39, vcc, v33, v39
	v_addc_co_u32_e32 v41, vcc, 0, v34, vcc
	v_add_co_u32_e32 v39, vcc, 0, v39
	s_waitcnt lgkmcnt(0)
	v_addc_co_u32_e32 v40, vcc, v41, v40, vcc
	v_cmp_gt_u32_e32 vcc, v59, v36
	v_cndmask_b32_e32 v34, v40, v34, vcc
	v_cndmask_b32_e32 v33, v39, v33, vcc
	s_branch .LBB22_66
.LBB22_64:                              ;   in Loop: Header=BB22_66 Depth=1
	s_or_b64 exec, exec, s[2:3]
	ds_bpermute_b32 v41, v58, v41
	s_waitcnt lgkmcnt(1)
	ds_bpermute_b32 v42, v58, v34
	v_subrev_u32_e32 v37, 64, v37
	s_mov_b64 s[2:3], 0
	s_waitcnt lgkmcnt(1)
	v_add_co_u32_e32 v41, vcc, v33, v41
	v_addc_co_u32_e32 v61, vcc, 0, v34, vcc
	v_add_co_u32_e32 v41, vcc, 0, v41
	s_waitcnt lgkmcnt(0)
	v_addc_co_u32_e32 v42, vcc, v61, v42, vcc
	v_cmp_gt_u32_e32 vcc, v59, v36
	v_cndmask_b32_e32 v33, v41, v33, vcc
	v_cndmask_b32_e32 v34, v42, v34, vcc
	v_add_co_u32_e32 v33, vcc, v33, v39
	v_addc_co_u32_e32 v34, vcc, v34, v40, vcc
.LBB22_65:                              ;   in Loop: Header=BB22_66 Depth=1
	s_and_b64 vcc, exec, s[2:3]
	s_cbranch_vccnz .LBB22_81
.LBB22_66:                              ; =>This Loop Header: Depth=1
                                        ;     Child Loop BB22_69 Depth 2
	v_mov_b32_e32 v40, v34
	v_cmp_ne_u16_sdwa s[2:3], v35, v60 src0_sel:BYTE_0 src1_sel:DWORD
	v_mov_b32_e32 v39, v33
	s_cmp_lg_u64 s[2:3], exec
	s_mov_b64 s[2:3], -1
                                        ; implicit-def: $vgpr33_vgpr34
                                        ; implicit-def: $vgpr35
	s_cbranch_scc1 .LBB22_65
; %bb.67:                               ;   in Loop: Header=BB22_66 Depth=1
	v_lshlrev_b64 v[33:34], 4, v[37:38]
	v_mov_b32_e32 v35, s19
	v_add_co_u32_e32 v41, vcc, s18, v33
	v_addc_co_u32_e32 v42, vcc, v35, v34, vcc
	;;#ASMSTART
	global_load_dwordx4 v[33:36], v[41:42] off glc	
s_waitcnt vmcnt(0)
	;;#ASMEND
	v_cmp_eq_u16_sdwa s[20:21], v35, v38 src0_sel:BYTE_0 src1_sel:DWORD
	s_and_saveexec_b64 s[2:3], s[20:21]
	s_cbranch_execz .LBB22_71
; %bb.68:                               ;   in Loop: Header=BB22_66 Depth=1
	s_mov_b64 s[20:21], 0
.LBB22_69:                              ;   Parent Loop BB22_66 Depth=1
                                        ; =>  This Inner Loop Header: Depth=2
	;;#ASMSTART
	global_load_dwordx4 v[33:36], v[41:42] off glc	
s_waitcnt vmcnt(0)
	;;#ASMEND
	v_cmp_ne_u16_sdwa s[24:25], v35, v38 src0_sel:BYTE_0 src1_sel:DWORD
	s_or_b64 s[20:21], s[24:25], s[20:21]
	s_andn2_b64 exec, exec, s[20:21]
	s_cbranch_execnz .LBB22_69
; %bb.70:                               ;   in Loop: Header=BB22_66 Depth=1
	s_or_b64 exec, exec, s[20:21]
.LBB22_71:                              ;   in Loop: Header=BB22_66 Depth=1
	s_or_b64 exec, exec, s[2:3]
	v_cmp_eq_u16_sdwa s[2:3], v35, v60 src0_sel:BYTE_0 src1_sel:DWORD
	v_and_b32_e32 v36, s3, v32
	v_or_b32_e32 v36, 0x80000000, v36
	ds_bpermute_b32 v61, v48, v33
	ds_bpermute_b32 v42, v48, v34
	v_and_b32_e32 v41, s2, v31
	v_ffbl_b32_e32 v36, v36
	v_add_u32_e32 v36, 32, v36
	v_ffbl_b32_e32 v41, v41
	v_min_u32_e32 v36, v41, v36
	v_cmp_le_u32_e32 vcc, v49, v36
	v_mov_b32_e32 v41, v33
	s_and_saveexec_b64 s[2:3], vcc
	s_cbranch_execz .LBB22_73
; %bb.72:                               ;   in Loop: Header=BB22_66 Depth=1
	s_waitcnt lgkmcnt(1)
	v_add_co_u32_e32 v41, vcc, v33, v61
	v_addc_co_u32_e32 v34, vcc, 0, v34, vcc
	v_add_co_u32_e32 v33, vcc, 0, v41
	s_waitcnt lgkmcnt(0)
	v_addc_co_u32_e32 v34, vcc, v42, v34, vcc
.LBB22_73:                              ;   in Loop: Header=BB22_66 Depth=1
	s_or_b64 exec, exec, s[2:3]
	s_waitcnt lgkmcnt(1)
	ds_bpermute_b32 v61, v50, v41
	s_waitcnt lgkmcnt(1)
	ds_bpermute_b32 v42, v50, v34
	v_cmp_le_u32_e32 vcc, v51, v36
	s_and_saveexec_b64 s[2:3], vcc
	s_cbranch_execz .LBB22_75
; %bb.74:                               ;   in Loop: Header=BB22_66 Depth=1
	s_waitcnt lgkmcnt(1)
	v_add_co_u32_e32 v41, vcc, v33, v61
	v_addc_co_u32_e32 v34, vcc, 0, v34, vcc
	v_add_co_u32_e32 v33, vcc, 0, v41
	s_waitcnt lgkmcnt(0)
	v_addc_co_u32_e32 v34, vcc, v42, v34, vcc
.LBB22_75:                              ;   in Loop: Header=BB22_66 Depth=1
	s_or_b64 exec, exec, s[2:3]
	s_waitcnt lgkmcnt(1)
	ds_bpermute_b32 v61, v52, v41
	s_waitcnt lgkmcnt(1)
	ds_bpermute_b32 v42, v52, v34
	v_cmp_le_u32_e32 vcc, v53, v36
	;; [unrolled: 16-line block ×4, first 2 shown]
	s_and_saveexec_b64 s[2:3], vcc
	s_cbranch_execz .LBB22_64
; %bb.80:                               ;   in Loop: Header=BB22_66 Depth=1
	s_waitcnt lgkmcnt(1)
	v_add_co_u32_e32 v41, vcc, v33, v61
	v_addc_co_u32_e32 v34, vcc, 0, v34, vcc
	v_add_co_u32_e32 v33, vcc, 0, v41
	s_waitcnt lgkmcnt(0)
	v_addc_co_u32_e32 v34, vcc, v42, v34, vcc
	s_branch .LBB22_64
.LBB22_81:
	s_and_saveexec_b64 s[2:3], s[0:1]
	s_cbranch_execz .LBB22_83
; %bb.82:
	s_add_i32 s0, s6, 64
	s_mov_b32 s1, 0
	s_lshl_b64 s[0:1], s[0:1], 4
	s_add_u32 s0, s18, s0
	s_addc_u32 s1, s19, s1
	v_add_co_u32_e32 v29, vcc, v39, v29
	v_mov_b32_e32 v34, s1
	v_addc_co_u32_e32 v30, vcc, v40, v30, vcc
	v_mov_b32_e32 v31, 2
	v_mov_b32_e32 v32, 0
	;; [unrolled: 1-line block ×3, first 2 shown]
	;;#ASMSTART
	global_store_dwordx4 v[33:34], v[29:32] off	
s_waitcnt vmcnt(0)
	;;#ASMEND
.LBB22_83:
	s_or_b64 exec, exec, s[2:3]
	v_cmp_eq_u32_e32 vcc, 0, v0
	s_and_saveexec_b64 s[0:1], vcc
; %bb.84:
	v_mov_b32_e32 v29, 0
	ds_write_b64 v29, v[39:40]
; %bb.85:
	s_or_b64 exec, exec, s[0:1]
	v_mov_b32_e32 v29, 0
	s_waitcnt lgkmcnt(0)
	; wave barrier
	ds_read_b64 v[29:30], v29
	v_cndmask_b32_e64 v32, v46, 0, vcc
	v_cndmask_b32_e64 v31, v47, 0, vcc
	s_waitcnt lgkmcnt(0)
	v_add_co_u32_e32 v29, vcc, v29, v32
	v_addc_co_u32_e32 v30, vcc, v30, v31, vcc
	s_load_dwordx4 s[0:3], s[4:5], 0x40
	s_branch .LBB22_104
.LBB22_86:
                                        ; implicit-def: $vgpr29_vgpr30
	s_load_dwordx4 s[0:3], s[4:5], 0x40
	s_cbranch_execz .LBB22_104
; %bb.87:
	s_load_dword s6, s[4:5], 0x50
	v_mov_b32_e32 v32, s17
	v_mov_b32_e32 v31, s16
	s_waitcnt lgkmcnt(0)
	s_bitcmp0_b32 s6, 0
	s_cbranch_scc1 .LBB22_89
; %bb.88:
	v_mov_b32_e32 v31, 0
	global_load_ubyte v32, v31, s[14:15] offset:-1
	global_load_dwordx2 v[29:30], v31, s[0:1]
	s_waitcnt vmcnt(1)
	v_cmp_ne_u32_e32 vcc, 0, v32
	v_cndmask_b32_e64 v31, 0, 1, vcc
	s_waitcnt vmcnt(0)
	v_add_co_u32_e32 v31, vcc, v29, v31
	v_addc_co_u32_e32 v32, vcc, 0, v30, vcc
.LBB22_89:
	v_add_co_u32_e32 v29, vcc, v27, v25
	v_addc_co_u32_e32 v30, vcc, v28, v26, vcc
	v_add_co_u32_e32 v29, vcc, v29, v21
	v_addc_co_u32_e32 v30, vcc, v30, v22, vcc
	;; [unrolled: 2-line block ×12, first 2 shown]
	v_add_co_u32_e32 v3, vcc, v29, v3
	v_mbcnt_hi_u32_b32 v29, -1, v45
	v_addc_co_u32_e32 v4, vcc, v30, v4, vcc
	v_and_b32_e32 v33, 15, v29
	v_mov_b32_dpp v35, v3 row_shr:1 row_mask:0xf bank_mask:0xf
	v_mov_b32_dpp v34, v4 row_shr:1 row_mask:0xf bank_mask:0xf
	v_cmp_ne_u32_e32 vcc, 0, v33
	v_mov_b32_e32 v30, v3
	s_and_saveexec_b64 s[0:1], vcc
; %bb.90:
	v_add_co_u32_e32 v30, vcc, v3, v35
	v_addc_co_u32_e32 v4, vcc, 0, v4, vcc
	v_add_co_u32_e32 v3, vcc, 0, v30
	v_addc_co_u32_e32 v4, vcc, v34, v4, vcc
; %bb.91:
	s_or_b64 exec, exec, s[0:1]
	v_mov_b32_dpp v35, v30 row_shr:2 row_mask:0xf bank_mask:0xf
	v_mov_b32_dpp v34, v4 row_shr:2 row_mask:0xf bank_mask:0xf
	v_cmp_lt_u32_e32 vcc, 1, v33
	s_and_saveexec_b64 s[0:1], vcc
; %bb.92:
	v_add_co_u32_e32 v30, vcc, v3, v35
	v_addc_co_u32_e32 v4, vcc, 0, v4, vcc
	v_add_co_u32_e32 v3, vcc, 0, v30
	v_addc_co_u32_e32 v4, vcc, v34, v4, vcc
; %bb.93:
	s_or_b64 exec, exec, s[0:1]
	v_mov_b32_dpp v35, v30 row_shr:4 row_mask:0xf bank_mask:0xf
	v_mov_b32_dpp v34, v4 row_shr:4 row_mask:0xf bank_mask:0xf
	v_cmp_lt_u32_e32 vcc, 3, v33
	;; [unrolled: 11-line block ×3, first 2 shown]
	s_and_saveexec_b64 s[0:1], vcc
; %bb.96:
	v_add_co_u32_e32 v30, vcc, v3, v35
	v_addc_co_u32_e32 v4, vcc, 0, v4, vcc
	v_add_co_u32_e32 v3, vcc, 0, v30
	v_addc_co_u32_e32 v4, vcc, v34, v4, vcc
; %bb.97:
	s_or_b64 exec, exec, s[0:1]
	v_and_b32_e32 v35, 16, v29
	v_mov_b32_dpp v34, v30 row_bcast:15 row_mask:0xf bank_mask:0xf
	v_mov_b32_dpp v33, v4 row_bcast:15 row_mask:0xf bank_mask:0xf
	v_cmp_ne_u32_e32 vcc, 0, v35
	s_and_saveexec_b64 s[0:1], vcc
; %bb.98:
	v_add_co_u32_e32 v30, vcc, v3, v34
	v_addc_co_u32_e32 v4, vcc, 0, v4, vcc
	v_add_co_u32_e32 v3, vcc, 0, v30
	v_addc_co_u32_e32 v4, vcc, v33, v4, vcc
; %bb.99:
	s_or_b64 exec, exec, s[0:1]
	v_mov_b32_dpp v33, v30 row_bcast:31 row_mask:0xf bank_mask:0xf
	v_add_co_u32_e32 v33, vcc, v3, v33
	v_addc_co_u32_e32 v35, vcc, 0, v4, vcc
	v_mov_b32_dpp v34, v4 row_bcast:31 row_mask:0xf bank_mask:0xf
	v_add_co_u32_e32 v33, vcc, 0, v33
	v_addc_co_u32_e32 v34, vcc, v35, v34, vcc
	v_cmp_lt_u32_e32 vcc, 31, v29
	v_mov_b32_e32 v30, 0
	v_cndmask_b32_e32 v4, v4, v34, vcc
	v_cndmask_b32_e32 v3, v3, v33, vcc
	v_cmp_eq_u32_e32 vcc, 63, v0
	s_and_saveexec_b64 s[0:1], vcc
; %bb.100:
	ds_write_b64 v30, v[3:4]
; %bb.101:
	s_or_b64 exec, exec, s[0:1]
	v_add_co_u32_e32 v3, vcc, v3, v31
	v_addc_co_u32_e32 v4, vcc, v4, v32, vcc
	v_subrev_co_u32_e32 v30, vcc, 1, v29
	v_and_b32_e32 v33, 64, v29
	v_cmp_lt_i32_e64 s[0:1], v30, v33
	v_cndmask_b32_e64 v29, v30, v29, s[0:1]
	v_lshlrev_b32_e32 v29, 2, v29
	ds_bpermute_b32 v4, v29, v4
	ds_bpermute_b32 v3, v29, v3
	v_cmp_eq_u32_e64 s[0:1], 0, v0
	s_or_b64 vcc, s[0:1], vcc
	s_waitcnt lgkmcnt(0)
	v_cndmask_b32_e32 v30, v4, v32, vcc
	v_cndmask_b32_e32 v29, v3, v31, vcc
	; wave barrier
	s_and_saveexec_b64 s[6:7], s[0:1]
	s_cbranch_execz .LBB22_103
; %bb.102:
	v_mov_b32_e32 v36, 0
	ds_read_b64 v[3:4], v36
	s_add_u32 s0, s18, 0x400
	s_addc_u32 s1, s19, 0
	v_mov_b32_e32 v35, 2
	v_mov_b32_e32 v29, v31
	s_waitcnt lgkmcnt(0)
	v_add_co_u32_e32 v33, vcc, v3, v31
	v_addc_co_u32_e32 v34, vcc, v4, v32, vcc
	v_mov_b32_e32 v4, s1
	v_mov_b32_e32 v3, s0
	;;#ASMSTART
	global_store_dwordx4 v[3:4], v[33:36] off	
s_waitcnt vmcnt(0)
	;;#ASMEND
	v_mov_b32_e32 v30, v32
.LBB22_103:
	s_or_b64 exec, exec, s[6:7]
.LBB22_104:
	v_add_co_u32_e32 v31, vcc, v29, v25
	v_addc_co_u32_e32 v32, vcc, v30, v26, vcc
	v_add_co_u32_e32 v25, vcc, v31, v27
	v_addc_co_u32_e32 v26, vcc, v32, v28, vcc
	;; [unrolled: 2-line block ×12, first 2 shown]
	v_add_co_u32_e32 v5, vcc, v3, v1
	s_waitcnt lgkmcnt(0)
	s_lshl_b64 s[0:1], s[12:13], 3
	v_addc_co_u32_e32 v6, vcc, v4, v2, vcc
	s_add_u32 s0, s8, s0
	s_addc_u32 s1, s9, s1
	s_mov_b64 s[6:7], -1
	s_and_b64 vcc, exec, s[10:11]
	; wave barrier
	s_cbranch_vccz .LBB22_106
; %bb.105:
	ds_write_b128 v44, v[29:32]
	ds_write_b128 v44, v[25:28] offset:16
	ds_write_b128 v44, v[21:24] offset:32
	ds_write_b128 v44, v[17:20] offset:48
	ds_write_b128 v44, v[13:16] offset:64
	ds_write_b128 v44, v[9:12] offset:80
	ds_write_b128 v44, v[3:6] offset:96
	s_waitcnt lgkmcnt(0)
	; wave barrier
	ds_read2st64_b64 v[33:36], v43 offset1:1
	ds_read2st64_b64 v[37:40], v43 offset0:2 offset1:3
	ds_read2st64_b64 v[45:48], v43 offset0:4 offset1:5
	;; [unrolled: 1-line block ×6, first 2 shown]
	v_mov_b32_e32 v1, s1
	v_add_co_u32_e32 v2, vcc, s0, v43
	v_addc_co_u32_e32 v7, vcc, 0, v1, vcc
	v_add_co_u32_e32 v1, vcc, 0x1000, v2
	v_addc_co_u32_e32 v2, vcc, 0, v7, vcc
	s_waitcnt lgkmcnt(6)
	global_store_dwordx2 v43, v[33:34], s[0:1]
	global_store_dwordx2 v43, v[35:36], s[0:1] offset:512
	s_waitcnt lgkmcnt(5)
	global_store_dwordx2 v43, v[37:38], s[0:1] offset:1024
	global_store_dwordx2 v43, v[39:40], s[0:1] offset:1536
	s_waitcnt lgkmcnt(4)
	global_store_dwordx2 v43, v[45:46], s[0:1] offset:2048
	global_store_dwordx2 v43, v[47:48], s[0:1] offset:2560
	s_waitcnt lgkmcnt(3)
	global_store_dwordx2 v43, v[49:50], s[0:1] offset:3072
	global_store_dwordx2 v43, v[51:52], s[0:1] offset:3584
	s_waitcnt lgkmcnt(2)
	global_store_dwordx2 v[1:2], v[53:54], off
	global_store_dwordx2 v[1:2], v[55:56], off offset:512
	s_waitcnt lgkmcnt(1)
	global_store_dwordx2 v[1:2], v[57:58], off offset:1024
	global_store_dwordx2 v[1:2], v[59:60], off offset:1536
	s_waitcnt lgkmcnt(0)
	global_store_dwordx2 v[1:2], v[61:62], off offset:2048
	global_store_dwordx2 v[1:2], v[63:64], off offset:2560
	s_mov_b64 s[6:7], 0
.LBB22_106:
	s_andn2_b64 vcc, exec, s[6:7]
	s_cbranch_vccnz .LBB22_186
; %bb.107:
	ds_write_b128 v44, v[29:32]
	ds_write_b128 v44, v[25:28] offset:16
	ds_write_b128 v44, v[21:24] offset:32
	;; [unrolled: 1-line block ×6, first 2 shown]
	s_waitcnt lgkmcnt(0)
	; wave barrier
	ds_read2st64_b64 v[6:9], v43 offset1:1
	ds_read2st64_b64 v[10:13], v43 offset0:2 offset1:3
	ds_read2st64_b64 v[14:17], v43 offset0:4 offset1:5
	;; [unrolled: 1-line block ×6, first 2 shown]
	v_mov_b32_e32 v31, s1
	v_add_co_u32_e32 v30, vcc, s0, v43
	v_addc_co_u32_e32 v31, vcc, 0, v31, vcc
	v_mov_b32_e32 v1, 0
	v_cmp_gt_u32_e32 vcc, s22, v0
	s_and_saveexec_b64 s[0:1], vcc
	s_cbranch_execz .LBB22_109
; %bb.108:
	s_waitcnt lgkmcnt(6)
	global_store_dwordx2 v[30:31], v[6:7], off
.LBB22_109:
	s_or_b64 exec, exec, s[0:1]
	v_or_b32_e32 v32, 64, v0
	v_cmp_gt_u32_e32 vcc, s22, v32
	s_and_saveexec_b64 s[0:1], vcc
	s_cbranch_execz .LBB22_111
; %bb.110:
	s_waitcnt lgkmcnt(6)
	global_store_dwordx2 v[30:31], v[8:9], off offset:512
.LBB22_111:
	s_or_b64 exec, exec, s[0:1]
	v_or_b32_e32 v32, 0x80, v0
	v_cmp_gt_u32_e32 vcc, s22, v32
	s_and_saveexec_b64 s[0:1], vcc
	s_cbranch_execz .LBB22_113
; %bb.112:
	s_waitcnt lgkmcnt(5)
	global_store_dwordx2 v[30:31], v[10:11], off offset:1024
.LBB22_113:
	;; [unrolled: 9-line block ×7, first 2 shown]
	s_or_b64 exec, exec, s[0:1]
	v_or_b32_e32 v32, 0x200, v0
	v_cmp_gt_u32_e32 vcc, s22, v32
	s_and_saveexec_b64 s[0:1], vcc
	s_cbranch_execz .LBB22_125
; %bb.124:
	v_add_co_u32_e32 v32, vcc, 0x1000, v30
	v_addc_co_u32_e32 v33, vcc, 0, v31, vcc
	s_waitcnt lgkmcnt(2)
	global_store_dwordx2 v[32:33], v[22:23], off
.LBB22_125:
	s_or_b64 exec, exec, s[0:1]
	v_or_b32_e32 v32, 0x240, v0
	v_cmp_gt_u32_e32 vcc, s22, v32
	s_and_saveexec_b64 s[0:1], vcc
	s_cbranch_execz .LBB22_127
; %bb.126:
	v_add_co_u32_e32 v32, vcc, 0x1000, v30
	v_addc_co_u32_e32 v33, vcc, 0, v31, vcc
	s_waitcnt lgkmcnt(2)
	global_store_dwordx2 v[32:33], v[24:25], off offset:512
.LBB22_127:
	s_or_b64 exec, exec, s[0:1]
	v_or_b32_e32 v32, 0x280, v0
	v_cmp_gt_u32_e32 vcc, s22, v32
	s_and_saveexec_b64 s[0:1], vcc
	s_cbranch_execz .LBB22_129
; %bb.128:
	v_add_co_u32_e32 v32, vcc, 0x1000, v30
	v_addc_co_u32_e32 v33, vcc, 0, v31, vcc
	s_waitcnt lgkmcnt(1)
	global_store_dwordx2 v[32:33], v[18:19], off offset:1024
.LBB22_129:
	;; [unrolled: 11-line block ×5, first 2 shown]
	s_or_b64 exec, exec, s[0:1]
	s_load_dword s0, s[4:5], 0x50
	s_waitcnt lgkmcnt(0)
	s_bfe_u32 s0, s0, 0x10008
	s_cmp_eq_u32 s0, 0
	s_cbranch_scc1 .LBB22_186
; %bb.136:
	s_add_u32 s0, s22, -1
	s_addc_u32 s1, s23, -1
	s_lshr_b64 s[4:5], s[0:1], 1
	s_lshr_b32 s7, s1, 1
	s_mul_hi_u32 s5, s4, 0x49249249
	s_mul_i32 s6, s4, 0x49249249
	s_mul_i32 s9, s7, 0x24924925
	s_mul_hi_u32 s4, s4, 0x24924925
	s_mul_hi_u32 s8, s7, 0x24924925
	s_add_u32 s4, s9, s4
	s_addc_u32 s8, s8, 0
	s_add_u32 s4, s6, s4
	s_addc_u32 s4, s5, 0
	;; [unrolled: 2-line block ×3, first 2 shown]
	s_mul_hi_u32 s6, s7, 0x49249249
	s_mul_i32 s7, s7, 0x49249249
	s_add_u32 s4, s7, s4
	s_addc_u32 s5, s6, s5
	s_lshr_b64 s[4:5], s[4:5], 1
	v_cmp_eq_u64_e32 vcc, s[4:5], v[0:1]
	s_and_saveexec_b64 s[4:5], vcc
	s_cbranch_execz .LBB22_186
; %bb.137:
	v_mul_hi_u32_u24_e32 v1, 14, v0
	v_mul_u32_u24_e32 v0, 14, v0
	v_mov_b32_e32 v30, s1
	v_sub_co_u32_e32 v0, vcc, s0, v0
	v_subb_co_u32_e32 v1, vcc, v30, v1, vcc
	v_cmp_lt_i64_e32 vcc, 6, v[0:1]
	s_and_saveexec_b64 s[0:1], vcc
	s_xor_b64 s[0:1], exec, s[0:1]
	s_cbranch_execz .LBB22_163
; %bb.138:
	v_cmp_lt_i64_e32 vcc, 9, v[0:1]
	s_and_saveexec_b64 s[4:5], vcc
	s_xor_b64 s[4:5], exec, s[4:5]
	s_cbranch_execz .LBB22_152
; %bb.139:
	v_cmp_lt_i64_e32 vcc, 11, v[0:1]
	s_and_saveexec_b64 s[6:7], vcc
	s_xor_b64 s[6:7], exec, s[6:7]
	s_cbranch_execz .LBB22_145
; %bb.140:
	v_cmp_lt_i64_e32 vcc, 12, v[0:1]
	s_and_saveexec_b64 s[8:9], vcc
	s_xor_b64 s[8:9], exec, s[8:9]
	s_cbranch_execz .LBB22_142
; %bb.141:
	v_mov_b32_e32 v0, 0
	global_store_dwordx2 v0, v[28:29], s[2:3]
                                        ; implicit-def: $vgpr26_vgpr27_vgpr28_vgpr29
.LBB22_142:
	s_andn2_saveexec_b64 s[8:9], s[8:9]
	s_cbranch_execz .LBB22_144
; %bb.143:
	v_mov_b32_e32 v0, 0
	global_store_dwordx2 v0, v[26:27], s[2:3]
.LBB22_144:
	s_or_b64 exec, exec, s[8:9]
                                        ; implicit-def: $vgpr18_vgpr19_vgpr20_vgpr21
                                        ; implicit-def: $vgpr0_vgpr1
.LBB22_145:
	s_andn2_saveexec_b64 s[6:7], s[6:7]
	s_cbranch_execz .LBB22_151
; %bb.146:
	v_cmp_lt_i64_e32 vcc, 10, v[0:1]
	s_and_saveexec_b64 s[8:9], vcc
	s_xor_b64 s[8:9], exec, s[8:9]
	s_cbranch_execz .LBB22_148
; %bb.147:
	v_mov_b32_e32 v0, 0
	global_store_dwordx2 v0, v[20:21], s[2:3]
                                        ; implicit-def: $vgpr18_vgpr19_vgpr20_vgpr21
.LBB22_148:
	s_andn2_saveexec_b64 s[8:9], s[8:9]
	s_cbranch_execz .LBB22_150
; %bb.149:
	v_mov_b32_e32 v0, 0
	global_store_dwordx2 v0, v[18:19], s[2:3]
.LBB22_150:
	s_or_b64 exec, exec, s[8:9]
.LBB22_151:
	s_or_b64 exec, exec, s[6:7]
                                        ; implicit-def: $vgpr2_vgpr3_vgpr4_vgpr5
                                        ; implicit-def: $vgpr0_vgpr1
                                        ; implicit-def: $vgpr22_vgpr23_vgpr24_vgpr25
.LBB22_152:
	s_andn2_saveexec_b64 s[4:5], s[4:5]
	s_cbranch_execz .LBB22_162
; %bb.153:
	v_cmp_lt_i64_e32 vcc, 7, v[0:1]
	s_and_saveexec_b64 s[6:7], vcc
	s_xor_b64 s[6:7], exec, s[6:7]
	s_cbranch_execz .LBB22_159
; %bb.154:
	v_cmp_lt_i64_e32 vcc, 8, v[0:1]
	s_and_saveexec_b64 s[8:9], vcc
	s_xor_b64 s[8:9], exec, s[8:9]
	s_cbranch_execz .LBB22_156
; %bb.155:
	v_mov_b32_e32 v0, 0
	global_store_dwordx2 v0, v[24:25], s[2:3]
                                        ; implicit-def: $vgpr22_vgpr23_vgpr24_vgpr25
.LBB22_156:
	s_andn2_saveexec_b64 s[8:9], s[8:9]
	s_cbranch_execz .LBB22_158
; %bb.157:
	v_mov_b32_e32 v0, 0
	global_store_dwordx2 v0, v[22:23], s[2:3]
.LBB22_158:
	s_or_b64 exec, exec, s[8:9]
                                        ; implicit-def: $vgpr2_vgpr3_vgpr4_vgpr5
.LBB22_159:
	s_andn2_saveexec_b64 s[6:7], s[6:7]
	s_cbranch_execz .LBB22_161
; %bb.160:
	v_mov_b32_e32 v0, 0
	global_store_dwordx2 v0, v[4:5], s[2:3]
.LBB22_161:
	s_or_b64 exec, exec, s[6:7]
.LBB22_162:
	s_or_b64 exec, exec, s[4:5]
                                        ; implicit-def: $vgpr0_vgpr1
                                        ; implicit-def: $vgpr14_vgpr15_vgpr16_vgpr17
                                        ; implicit-def: $vgpr6_vgpr7_vgpr8_vgpr9
                                        ; implicit-def: $vgpr10_vgpr11_vgpr12_vgpr13
                                        ; implicit-def: $vgpr2_vgpr3_vgpr4_vgpr5
.LBB22_163:
	s_andn2_saveexec_b64 s[0:1], s[0:1]
	s_cbranch_execz .LBB22_186
; %bb.164:
	v_cmp_lt_i64_e32 vcc, 3, v[0:1]
	s_and_saveexec_b64 s[0:1], vcc
	s_xor_b64 s[0:1], exec, s[0:1]
	s_cbranch_execz .LBB22_174
; %bb.165:
	v_cmp_lt_i64_e32 vcc, 4, v[0:1]
	s_and_saveexec_b64 s[4:5], vcc
	s_xor_b64 s[4:5], exec, s[4:5]
	;; [unrolled: 5-line block ×3, first 2 shown]
	s_cbranch_execz .LBB22_168
; %bb.167:
	v_mov_b32_e32 v0, 0
	global_store_dwordx2 v0, v[2:3], s[2:3]
                                        ; implicit-def: $vgpr14_vgpr15_vgpr16_vgpr17
.LBB22_168:
	s_andn2_saveexec_b64 s[6:7], s[6:7]
	s_cbranch_execz .LBB22_170
; %bb.169:
	v_mov_b32_e32 v0, 0
	global_store_dwordx2 v0, v[16:17], s[2:3]
.LBB22_170:
	s_or_b64 exec, exec, s[6:7]
                                        ; implicit-def: $vgpr14_vgpr15_vgpr16_vgpr17
.LBB22_171:
	s_andn2_saveexec_b64 s[4:5], s[4:5]
	s_cbranch_execz .LBB22_173
; %bb.172:
	v_mov_b32_e32 v0, 0
	global_store_dwordx2 v0, v[14:15], s[2:3]
.LBB22_173:
	s_or_b64 exec, exec, s[4:5]
                                        ; implicit-def: $vgpr0_vgpr1
                                        ; implicit-def: $vgpr6_vgpr7_vgpr8_vgpr9
                                        ; implicit-def: $vgpr10_vgpr11_vgpr12_vgpr13
.LBB22_174:
	s_andn2_saveexec_b64 s[0:1], s[0:1]
	s_cbranch_execz .LBB22_186
; %bb.175:
	v_cmp_lt_i64_e32 vcc, 1, v[0:1]
	s_and_saveexec_b64 s[0:1], vcc
	s_xor_b64 s[0:1], exec, s[0:1]
	s_cbranch_execz .LBB22_181
; %bb.176:
	v_cmp_lt_i64_e32 vcc, 2, v[0:1]
	s_and_saveexec_b64 s[4:5], vcc
	s_xor_b64 s[4:5], exec, s[4:5]
	s_cbranch_execz .LBB22_178
; %bb.177:
	v_mov_b32_e32 v0, 0
	global_store_dwordx2 v0, v[12:13], s[2:3]
                                        ; implicit-def: $vgpr10_vgpr11_vgpr12_vgpr13
.LBB22_178:
	s_andn2_saveexec_b64 s[4:5], s[4:5]
	s_cbranch_execz .LBB22_180
; %bb.179:
	v_mov_b32_e32 v0, 0
	global_store_dwordx2 v0, v[10:11], s[2:3]
.LBB22_180:
	s_or_b64 exec, exec, s[4:5]
                                        ; implicit-def: $vgpr6_vgpr7_vgpr8_vgpr9
                                        ; implicit-def: $vgpr0_vgpr1
.LBB22_181:
	s_andn2_saveexec_b64 s[0:1], s[0:1]
	s_cbranch_execz .LBB22_186
; %bb.182:
	v_cmp_ne_u64_e32 vcc, 1, v[0:1]
	s_and_saveexec_b64 s[0:1], vcc
	s_xor_b64 s[0:1], exec, s[0:1]
	s_cbranch_execz .LBB22_184
; %bb.183:
	v_mov_b32_e32 v0, 0
	global_store_dwordx2 v0, v[6:7], s[2:3]
                                        ; implicit-def: $vgpr6_vgpr7_vgpr8_vgpr9
.LBB22_184:
	s_andn2_saveexec_b64 s[0:1], s[0:1]
	s_cbranch_execz .LBB22_186
; %bb.185:
	v_mov_b32_e32 v0, 0
	global_store_dwordx2 v0, v[8:9], s[2:3]
.LBB22_186:
	s_endpgm
	.section	.rodata,"a",@progbits
	.p2align	6, 0x0
	.amdhsa_kernel _ZN7rocprim17ROCPRIM_304000_NS6detail20lookback_scan_kernelILNS1_25lookback_scan_determinismE0ELb1ENS1_19wrapped_scan_configINS0_14default_configElEEN6hipcub22TransformInputIteratorIbN2at4cuda3cub12_GLOBAL__N_111CountMaskOpEPKhlEEPlNSC_5SumOpIlEEllNS1_19lookback_scan_stateIlLb0ELb1EEEEEvT2_T3_mT5_T4_T7_jPT6_SS_bb
		.amdhsa_group_segment_fixed_size 7168
		.amdhsa_private_segment_fixed_size 0
		.amdhsa_kernarg_size 84
		.amdhsa_user_sgpr_count 6
		.amdhsa_user_sgpr_private_segment_buffer 1
		.amdhsa_user_sgpr_dispatch_ptr 0
		.amdhsa_user_sgpr_queue_ptr 0
		.amdhsa_user_sgpr_kernarg_segment_ptr 1
		.amdhsa_user_sgpr_dispatch_id 0
		.amdhsa_user_sgpr_flat_scratch_init 0
		.amdhsa_user_sgpr_private_segment_size 0
		.amdhsa_uses_dynamic_stack 0
		.amdhsa_system_sgpr_private_segment_wavefront_offset 0
		.amdhsa_system_sgpr_workgroup_id_x 1
		.amdhsa_system_sgpr_workgroup_id_y 0
		.amdhsa_system_sgpr_workgroup_id_z 0
		.amdhsa_system_sgpr_workgroup_info 0
		.amdhsa_system_vgpr_workitem_id 0
		.amdhsa_next_free_vgpr 65
		.amdhsa_next_free_sgpr 98
		.amdhsa_reserve_vcc 1
		.amdhsa_reserve_flat_scratch 0
		.amdhsa_float_round_mode_32 0
		.amdhsa_float_round_mode_16_64 0
		.amdhsa_float_denorm_mode_32 3
		.amdhsa_float_denorm_mode_16_64 3
		.amdhsa_dx10_clamp 1
		.amdhsa_ieee_mode 1
		.amdhsa_fp16_overflow 0
		.amdhsa_exception_fp_ieee_invalid_op 0
		.amdhsa_exception_fp_denorm_src 0
		.amdhsa_exception_fp_ieee_div_zero 0
		.amdhsa_exception_fp_ieee_overflow 0
		.amdhsa_exception_fp_ieee_underflow 0
		.amdhsa_exception_fp_ieee_inexact 0
		.amdhsa_exception_int_div_zero 0
	.end_amdhsa_kernel
	.section	.text._ZN7rocprim17ROCPRIM_304000_NS6detail20lookback_scan_kernelILNS1_25lookback_scan_determinismE0ELb1ENS1_19wrapped_scan_configINS0_14default_configElEEN6hipcub22TransformInputIteratorIbN2at4cuda3cub12_GLOBAL__N_111CountMaskOpEPKhlEEPlNSC_5SumOpIlEEllNS1_19lookback_scan_stateIlLb0ELb1EEEEEvT2_T3_mT5_T4_T7_jPT6_SS_bb,"axG",@progbits,_ZN7rocprim17ROCPRIM_304000_NS6detail20lookback_scan_kernelILNS1_25lookback_scan_determinismE0ELb1ENS1_19wrapped_scan_configINS0_14default_configElEEN6hipcub22TransformInputIteratorIbN2at4cuda3cub12_GLOBAL__N_111CountMaskOpEPKhlEEPlNSC_5SumOpIlEEllNS1_19lookback_scan_stateIlLb0ELb1EEEEEvT2_T3_mT5_T4_T7_jPT6_SS_bb,comdat
.Lfunc_end22:
	.size	_ZN7rocprim17ROCPRIM_304000_NS6detail20lookback_scan_kernelILNS1_25lookback_scan_determinismE0ELb1ENS1_19wrapped_scan_configINS0_14default_configElEEN6hipcub22TransformInputIteratorIbN2at4cuda3cub12_GLOBAL__N_111CountMaskOpEPKhlEEPlNSC_5SumOpIlEEllNS1_19lookback_scan_stateIlLb0ELb1EEEEEvT2_T3_mT5_T4_T7_jPT6_SS_bb, .Lfunc_end22-_ZN7rocprim17ROCPRIM_304000_NS6detail20lookback_scan_kernelILNS1_25lookback_scan_determinismE0ELb1ENS1_19wrapped_scan_configINS0_14default_configElEEN6hipcub22TransformInputIteratorIbN2at4cuda3cub12_GLOBAL__N_111CountMaskOpEPKhlEEPlNSC_5SumOpIlEEllNS1_19lookback_scan_stateIlLb0ELb1EEEEEvT2_T3_mT5_T4_T7_jPT6_SS_bb
                                        ; -- End function
	.set _ZN7rocprim17ROCPRIM_304000_NS6detail20lookback_scan_kernelILNS1_25lookback_scan_determinismE0ELb1ENS1_19wrapped_scan_configINS0_14default_configElEEN6hipcub22TransformInputIteratorIbN2at4cuda3cub12_GLOBAL__N_111CountMaskOpEPKhlEEPlNSC_5SumOpIlEEllNS1_19lookback_scan_stateIlLb0ELb1EEEEEvT2_T3_mT5_T4_T7_jPT6_SS_bb.num_vgpr, 65
	.set _ZN7rocprim17ROCPRIM_304000_NS6detail20lookback_scan_kernelILNS1_25lookback_scan_determinismE0ELb1ENS1_19wrapped_scan_configINS0_14default_configElEEN6hipcub22TransformInputIteratorIbN2at4cuda3cub12_GLOBAL__N_111CountMaskOpEPKhlEEPlNSC_5SumOpIlEEllNS1_19lookback_scan_stateIlLb0ELb1EEEEEvT2_T3_mT5_T4_T7_jPT6_SS_bb.num_agpr, 0
	.set _ZN7rocprim17ROCPRIM_304000_NS6detail20lookback_scan_kernelILNS1_25lookback_scan_determinismE0ELb1ENS1_19wrapped_scan_configINS0_14default_configElEEN6hipcub22TransformInputIteratorIbN2at4cuda3cub12_GLOBAL__N_111CountMaskOpEPKhlEEPlNSC_5SumOpIlEEllNS1_19lookback_scan_stateIlLb0ELb1EEEEEvT2_T3_mT5_T4_T7_jPT6_SS_bb.numbered_sgpr, 26
	.set _ZN7rocprim17ROCPRIM_304000_NS6detail20lookback_scan_kernelILNS1_25lookback_scan_determinismE0ELb1ENS1_19wrapped_scan_configINS0_14default_configElEEN6hipcub22TransformInputIteratorIbN2at4cuda3cub12_GLOBAL__N_111CountMaskOpEPKhlEEPlNSC_5SumOpIlEEllNS1_19lookback_scan_stateIlLb0ELb1EEEEEvT2_T3_mT5_T4_T7_jPT6_SS_bb.num_named_barrier, 0
	.set _ZN7rocprim17ROCPRIM_304000_NS6detail20lookback_scan_kernelILNS1_25lookback_scan_determinismE0ELb1ENS1_19wrapped_scan_configINS0_14default_configElEEN6hipcub22TransformInputIteratorIbN2at4cuda3cub12_GLOBAL__N_111CountMaskOpEPKhlEEPlNSC_5SumOpIlEEllNS1_19lookback_scan_stateIlLb0ELb1EEEEEvT2_T3_mT5_T4_T7_jPT6_SS_bb.private_seg_size, 0
	.set _ZN7rocprim17ROCPRIM_304000_NS6detail20lookback_scan_kernelILNS1_25lookback_scan_determinismE0ELb1ENS1_19wrapped_scan_configINS0_14default_configElEEN6hipcub22TransformInputIteratorIbN2at4cuda3cub12_GLOBAL__N_111CountMaskOpEPKhlEEPlNSC_5SumOpIlEEllNS1_19lookback_scan_stateIlLb0ELb1EEEEEvT2_T3_mT5_T4_T7_jPT6_SS_bb.uses_vcc, 1
	.set _ZN7rocprim17ROCPRIM_304000_NS6detail20lookback_scan_kernelILNS1_25lookback_scan_determinismE0ELb1ENS1_19wrapped_scan_configINS0_14default_configElEEN6hipcub22TransformInputIteratorIbN2at4cuda3cub12_GLOBAL__N_111CountMaskOpEPKhlEEPlNSC_5SumOpIlEEllNS1_19lookback_scan_stateIlLb0ELb1EEEEEvT2_T3_mT5_T4_T7_jPT6_SS_bb.uses_flat_scratch, 0
	.set _ZN7rocprim17ROCPRIM_304000_NS6detail20lookback_scan_kernelILNS1_25lookback_scan_determinismE0ELb1ENS1_19wrapped_scan_configINS0_14default_configElEEN6hipcub22TransformInputIteratorIbN2at4cuda3cub12_GLOBAL__N_111CountMaskOpEPKhlEEPlNSC_5SumOpIlEEllNS1_19lookback_scan_stateIlLb0ELb1EEEEEvT2_T3_mT5_T4_T7_jPT6_SS_bb.has_dyn_sized_stack, 0
	.set _ZN7rocprim17ROCPRIM_304000_NS6detail20lookback_scan_kernelILNS1_25lookback_scan_determinismE0ELb1ENS1_19wrapped_scan_configINS0_14default_configElEEN6hipcub22TransformInputIteratorIbN2at4cuda3cub12_GLOBAL__N_111CountMaskOpEPKhlEEPlNSC_5SumOpIlEEllNS1_19lookback_scan_stateIlLb0ELb1EEEEEvT2_T3_mT5_T4_T7_jPT6_SS_bb.has_recursion, 0
	.set _ZN7rocprim17ROCPRIM_304000_NS6detail20lookback_scan_kernelILNS1_25lookback_scan_determinismE0ELb1ENS1_19wrapped_scan_configINS0_14default_configElEEN6hipcub22TransformInputIteratorIbN2at4cuda3cub12_GLOBAL__N_111CountMaskOpEPKhlEEPlNSC_5SumOpIlEEllNS1_19lookback_scan_stateIlLb0ELb1EEEEEvT2_T3_mT5_T4_T7_jPT6_SS_bb.has_indirect_call, 0
	.section	.AMDGPU.csdata,"",@progbits
; Kernel info:
; codeLenInByte = 6064
; TotalNumSgprs: 30
; NumVgprs: 65
; ScratchSize: 0
; MemoryBound: 0
; FloatMode: 240
; IeeeMode: 1
; LDSByteSize: 7168 bytes/workgroup (compile time only)
; SGPRBlocks: 12
; VGPRBlocks: 16
; NumSGPRsForWavesPerEU: 102
; NumVGPRsForWavesPerEU: 65
; Occupancy: 3
; WaveLimiterHint : 1
; COMPUTE_PGM_RSRC2:SCRATCH_EN: 0
; COMPUTE_PGM_RSRC2:USER_SGPR: 6
; COMPUTE_PGM_RSRC2:TRAP_HANDLER: 0
; COMPUTE_PGM_RSRC2:TGID_X_EN: 1
; COMPUTE_PGM_RSRC2:TGID_Y_EN: 0
; COMPUTE_PGM_RSRC2:TGID_Z_EN: 0
; COMPUTE_PGM_RSRC2:TIDIG_COMP_CNT: 0
	.section	.text._ZN7rocprim17ROCPRIM_304000_NS6detail18single_scan_kernelILb1ENS1_19wrapped_scan_configINS0_14default_configElEEN6hipcub22TransformInputIteratorIbN2at4cuda3cub12_GLOBAL__N_111CountMaskOpEPKhlEEPlNSB_5SumOpIlEEllEEvT1_mT4_T2_T3_,"axG",@progbits,_ZN7rocprim17ROCPRIM_304000_NS6detail18single_scan_kernelILb1ENS1_19wrapped_scan_configINS0_14default_configElEEN6hipcub22TransformInputIteratorIbN2at4cuda3cub12_GLOBAL__N_111CountMaskOpEPKhlEEPlNSB_5SumOpIlEEllEEvT1_mT4_T2_T3_,comdat
	.globl	_ZN7rocprim17ROCPRIM_304000_NS6detail18single_scan_kernelILb1ENS1_19wrapped_scan_configINS0_14default_configElEEN6hipcub22TransformInputIteratorIbN2at4cuda3cub12_GLOBAL__N_111CountMaskOpEPKhlEEPlNSB_5SumOpIlEEllEEvT1_mT4_T2_T3_ ; -- Begin function _ZN7rocprim17ROCPRIM_304000_NS6detail18single_scan_kernelILb1ENS1_19wrapped_scan_configINS0_14default_configElEEN6hipcub22TransformInputIteratorIbN2at4cuda3cub12_GLOBAL__N_111CountMaskOpEPKhlEEPlNSB_5SumOpIlEEllEEvT1_mT4_T2_T3_
	.p2align	8
	.type	_ZN7rocprim17ROCPRIM_304000_NS6detail18single_scan_kernelILb1ENS1_19wrapped_scan_configINS0_14default_configElEEN6hipcub22TransformInputIteratorIbN2at4cuda3cub12_GLOBAL__N_111CountMaskOpEPKhlEEPlNSB_5SumOpIlEEllEEvT1_mT4_T2_T3_,@function
_ZN7rocprim17ROCPRIM_304000_NS6detail18single_scan_kernelILb1ENS1_19wrapped_scan_configINS0_14default_configElEEN6hipcub22TransformInputIteratorIbN2at4cuda3cub12_GLOBAL__N_111CountMaskOpEPKhlEEPlNSB_5SumOpIlEEllEEvT1_mT4_T2_T3_: ; @_ZN7rocprim17ROCPRIM_304000_NS6detail18single_scan_kernelILb1ENS1_19wrapped_scan_configINS0_14default_configElEEN6hipcub22TransformInputIteratorIbN2at4cuda3cub12_GLOBAL__N_111CountMaskOpEPKhlEEPlNSB_5SumOpIlEEllEEvT1_mT4_T2_T3_
; %bb.0:
	s_load_dwordx2 s[0:1], s[4:5], 0x0
	s_load_dwordx4 s[28:31], s[4:5], 0x10
	v_mov_b32_e32 v1, 0
	s_mov_b32 s6, 0
	v_mov_b32_e32 v2, s6
	s_waitcnt lgkmcnt(0)
	global_load_ubyte v1, v1, s[0:1]
	v_mov_b32_e32 v3, s1
	v_add_co_u32_e32 v5, vcc, s0, v0
	v_addc_co_u32_e32 v6, vcc, 0, v3, vcc
	s_waitcnt vmcnt(0)
	v_cmp_ne_u32_e32 vcc, 0, v1
	v_cndmask_b32_e64 v1, 0, 1, vcc
	v_mov_b32_e32 v4, v2
	v_cmp_gt_u32_e32 vcc, s28, v0
	v_mov_b32_e32 v3, v1
	s_and_saveexec_b64 s[2:3], vcc
	s_cbranch_execz .LBB23_2
; %bb.1:
	global_load_ubyte v3, v[5:6], off
	v_mov_b32_e32 v4, s6
	s_waitcnt vmcnt(0)
	v_cmp_ne_u16_e64 s[0:1], 0, v3
	v_cndmask_b32_e64 v3, 0, 1, s[0:1]
.LBB23_2:
	s_or_b64 exec, exec, s[2:3]
	v_or_b32_e32 v7, 64, v0
	v_cmp_gt_u32_e64 s[0:1], s28, v7
	v_mov_b32_e32 v8, v2
	v_mov_b32_e32 v7, v1
	s_and_saveexec_b64 s[6:7], s[0:1]
	s_cbranch_execz .LBB23_4
; %bb.3:
	global_load_ubyte v7, v[5:6], off offset:64
	s_mov_b32 s8, 0
	v_mov_b32_e32 v8, s8
	s_waitcnt vmcnt(0)
	v_cmp_ne_u16_e64 s[2:3], 0, v7
	v_cndmask_b32_e64 v7, 0, 1, s[2:3]
.LBB23_4:
	s_or_b64 exec, exec, s[6:7]
	v_or_b32_e32 v9, 0x80, v0
	v_cmp_gt_u32_e64 s[2:3], s28, v9
	v_mov_b32_e32 v10, v2
	v_mov_b32_e32 v9, v1
	s_and_saveexec_b64 s[8:9], s[2:3]
	s_cbranch_execz .LBB23_6
; %bb.5:
	global_load_ubyte v9, v[5:6], off offset:128
	s_mov_b32 s10, 0
	v_mov_b32_e32 v10, s10
	s_waitcnt vmcnt(0)
	v_cmp_ne_u16_e64 s[6:7], 0, v9
	v_cndmask_b32_e64 v9, 0, 1, s[6:7]
.LBB23_6:
	;; [unrolled: 15-line block ×12, first 2 shown]
	s_or_b64 exec, exec, s[34:35]
	v_or_b32_e32 v31, 0x340, v0
	v_cmp_gt_u32_e64 s[24:25], s28, v31
	s_and_saveexec_b64 s[34:35], s[24:25]
	s_cbranch_execz .LBB23_28
; %bb.27:
	global_load_ubyte v1, v[5:6], off offset:832
	s_mov_b32 s33, 0
	v_mov_b32_e32 v2, s33
	s_waitcnt vmcnt(0)
	v_cmp_ne_u16_e64 s[28:29], 0, v1
	v_cndmask_b32_e64 v1, 0, 1, s[28:29]
.LBB23_28:
	s_or_b64 exec, exec, s[34:35]
	v_lshlrev_b32_e32 v31, 3, v0
	s_movk_i32 s28, 0x68
	ds_write2st64_b64 v31, v[3:4], v[7:8] offset1:1
	ds_write2st64_b64 v31, v[9:10], v[11:12] offset0:2 offset1:3
	ds_write2st64_b64 v31, v[13:14], v[15:16] offset0:4 offset1:5
	;; [unrolled: 1-line block ×6, first 2 shown]
	v_mad_u32_u24 v25, v0, s28, v31
	s_waitcnt lgkmcnt(0)
	; wave barrier
	ds_read_b128 v[13:16], v25
	ds_read_b128 v[9:12], v25 offset:16
	ds_read_b128 v[5:8], v25 offset:32
	;; [unrolled: 1-line block ×6, first 2 shown]
	s_waitcnt lgkmcnt(6)
	v_add_co_u32_e64 v29, s[28:29], v15, v13
	v_addc_co_u32_e64 v30, s[28:29], v16, v14, s[28:29]
	s_waitcnt lgkmcnt(5)
	v_add_co_u32_e64 v29, s[28:29], v29, v9
	v_addc_co_u32_e64 v30, s[28:29], v30, v10, s[28:29]
	v_add_co_u32_e64 v29, s[28:29], v29, v11
	v_addc_co_u32_e64 v30, s[28:29], v30, v12, s[28:29]
	s_waitcnt lgkmcnt(4)
	v_add_co_u32_e64 v29, s[28:29], v29, v5
	v_addc_co_u32_e64 v30, s[28:29], v30, v6, s[28:29]
	;; [unrolled: 5-line block ×6, first 2 shown]
	v_add_co_u32_e64 v27, s[28:29], v29, v27
	v_mbcnt_lo_u32_b32 v29, -1, 0
	v_mbcnt_hi_u32_b32 v29, -1, v29
	v_addc_co_u32_e64 v28, s[28:29], v30, v28, s[28:29]
	v_and_b32_e32 v32, 15, v29
	v_mov_b32_dpp v34, v27 row_shr:1 row_mask:0xf bank_mask:0xf
	v_mov_b32_dpp v33, v28 row_shr:1 row_mask:0xf bank_mask:0xf
	v_cmp_ne_u32_e64 s[28:29], 0, v32
	v_mov_b32_e32 v30, v27
	; wave barrier
	s_and_saveexec_b64 s[34:35], s[28:29]
; %bb.29:
	v_add_co_u32_e64 v30, s[28:29], v27, v34
	v_addc_co_u32_e64 v28, s[28:29], 0, v28, s[28:29]
	v_add_co_u32_e64 v27, s[28:29], 0, v30
	v_addc_co_u32_e64 v28, s[28:29], v33, v28, s[28:29]
; %bb.30:
	s_or_b64 exec, exec, s[34:35]
	v_mov_b32_dpp v34, v30 row_shr:2 row_mask:0xf bank_mask:0xf
	v_mov_b32_dpp v33, v28 row_shr:2 row_mask:0xf bank_mask:0xf
	v_cmp_lt_u32_e64 s[28:29], 1, v32
	s_and_saveexec_b64 s[34:35], s[28:29]
; %bb.31:
	v_add_co_u32_e64 v30, s[28:29], v27, v34
	v_addc_co_u32_e64 v28, s[28:29], 0, v28, s[28:29]
	v_add_co_u32_e64 v27, s[28:29], 0, v30
	v_addc_co_u32_e64 v28, s[28:29], v33, v28, s[28:29]
; %bb.32:
	s_or_b64 exec, exec, s[34:35]
	v_mov_b32_dpp v34, v30 row_shr:4 row_mask:0xf bank_mask:0xf
	v_mov_b32_dpp v33, v28 row_shr:4 row_mask:0xf bank_mask:0xf
	v_cmp_lt_u32_e64 s[28:29], 3, v32
	s_and_saveexec_b64 s[34:35], s[28:29]
; %bb.33:
	v_add_co_u32_e64 v30, s[28:29], v27, v34
	v_addc_co_u32_e64 v28, s[28:29], 0, v28, s[28:29]
	v_add_co_u32_e64 v27, s[28:29], 0, v30
	v_addc_co_u32_e64 v28, s[28:29], v33, v28, s[28:29]
; %bb.34:
	s_or_b64 exec, exec, s[34:35]
	s_load_dwordx2 s[34:35], s[4:5], 0x20
	v_mov_b32_dpp v34, v30 row_shr:8 row_mask:0xf bank_mask:0xf
	v_mov_b32_dpp v33, v28 row_shr:8 row_mask:0xf bank_mask:0xf
	v_cmp_lt_u32_e64 s[4:5], 7, v32
	s_and_saveexec_b64 s[28:29], s[4:5]
; %bb.35:
	v_add_co_u32_e64 v30, s[4:5], v27, v34
	v_addc_co_u32_e64 v28, s[4:5], 0, v28, s[4:5]
	v_add_co_u32_e64 v27, s[4:5], 0, v30
	v_addc_co_u32_e64 v28, s[4:5], v33, v28, s[4:5]
; %bb.36:
	s_or_b64 exec, exec, s[28:29]
	v_and_b32_e32 v34, 16, v29
	v_mov_b32_dpp v33, v30 row_bcast:15 row_mask:0xf bank_mask:0xf
	v_mov_b32_dpp v32, v28 row_bcast:15 row_mask:0xf bank_mask:0xf
	v_cmp_ne_u32_e64 s[4:5], 0, v34
	s_and_saveexec_b64 s[28:29], s[4:5]
; %bb.37:
	v_add_co_u32_e64 v30, s[4:5], v27, v33
	v_addc_co_u32_e64 v28, s[4:5], 0, v28, s[4:5]
	v_add_co_u32_e64 v27, s[4:5], 0, v30
	v_addc_co_u32_e64 v28, s[4:5], v32, v28, s[4:5]
; %bb.38:
	s_or_b64 exec, exec, s[28:29]
	v_mov_b32_dpp v33, v30 row_bcast:31 row_mask:0xf bank_mask:0xf
	v_add_co_u32_e64 v33, s[4:5], v27, v33
	v_addc_co_u32_e64 v35, s[4:5], 0, v28, s[4:5]
	v_mov_b32_dpp v34, v28 row_bcast:31 row_mask:0xf bank_mask:0xf
	v_add_co_u32_e64 v33, s[4:5], 0, v33
	v_addc_co_u32_e64 v34, s[4:5], v35, v34, s[4:5]
	v_cmp_lt_u32_e64 s[4:5], 31, v29
	v_mul_u32_u24_e32 v32, 0x68, v0
	v_mov_b32_e32 v30, 0
	v_cndmask_b32_e64 v28, v28, v34, s[4:5]
	v_cndmask_b32_e64 v27, v27, v33, s[4:5]
	v_cmp_eq_u32_e64 s[4:5], 63, v0
	s_and_saveexec_b64 s[28:29], s[4:5]
; %bb.39:
	ds_write_b64 v30, v[27:28]
; %bb.40:
	s_or_b64 exec, exec, s[28:29]
	v_mov_b32_e32 v30, s31
	v_add_co_u32_e64 v27, s[4:5], s30, v27
	v_addc_co_u32_e64 v28, s[4:5], v28, v30, s[4:5]
	v_subrev_co_u32_e64 v30, s[4:5], 1, v29
	v_and_b32_e32 v33, 64, v29
	v_cmp_lt_i32_e64 s[28:29], v30, v33
	v_cndmask_b32_e64 v29, v30, v29, s[28:29]
	v_lshlrev_b32_e32 v29, 2, v29
	ds_bpermute_b32 v28, v29, v28
	ds_bpermute_b32 v27, v29, v27
	v_cmp_eq_u32_e64 s[28:29], 0, v0
	v_mov_b32_e32 v0, s31
	s_or_b64 s[4:5], s[28:29], s[4:5]
	s_waitcnt lgkmcnt(0)
	v_cndmask_b32_e64 v28, v28, v0, s[4:5]
	v_mov_b32_e32 v0, s30
	v_cndmask_b32_e64 v27, v27, v0, s[4:5]
	v_add_co_u32_e64 v29, s[4:5], v27, v13
	v_addc_co_u32_e64 v30, s[4:5], v28, v14, s[4:5]
	v_add_co_u32_e64 v13, s[4:5], v29, v15
	v_addc_co_u32_e64 v14, s[4:5], v30, v16, s[4:5]
	;; [unrolled: 2-line block ×13, first 2 shown]
	v_add_u32_e32 v4, v31, v32
	; wave barrier
	; wave barrier
	ds_write_b128 v4, v[27:30]
	ds_write_b128 v4, v[13:16] offset:16
	ds_write_b128 v4, v[9:12] offset:32
	;; [unrolled: 1-line block ×6, first 2 shown]
	s_waitcnt lgkmcnt(0)
	; wave barrier
	ds_read2st64_b64 v[20:23], v31 offset0:1 offset1:2
	ds_read2st64_b64 v[16:19], v31 offset0:3 offset1:4
	;; [unrolled: 1-line block ×6, first 2 shown]
	ds_read_b64 v[24:25], v31 offset:6656
	v_mov_b32_e32 v27, s35
	v_add_co_u32_e64 v26, s[4:5], s34, v31
	v_addc_co_u32_e64 v27, s[4:5], 0, v27, s[4:5]
	s_and_saveexec_b64 s[4:5], vcc
	s_cbranch_execnz .LBB23_55
; %bb.41:
	s_or_b64 exec, exec, s[4:5]
	s_and_saveexec_b64 s[4:5], s[0:1]
	s_cbranch_execnz .LBB23_56
.LBB23_42:
	s_or_b64 exec, exec, s[4:5]
	s_and_saveexec_b64 s[0:1], s[2:3]
	s_cbranch_execnz .LBB23_57
.LBB23_43:
	s_or_b64 exec, exec, s[0:1]
	s_and_saveexec_b64 s[0:1], s[26:27]
	s_cbranch_execnz .LBB23_58
.LBB23_44:
	s_or_b64 exec, exec, s[0:1]
	s_and_saveexec_b64 s[0:1], s[6:7]
	s_cbranch_execnz .LBB23_59
.LBB23_45:
	s_or_b64 exec, exec, s[0:1]
	s_and_saveexec_b64 s[0:1], s[8:9]
	s_cbranch_execnz .LBB23_60
.LBB23_46:
	s_or_b64 exec, exec, s[0:1]
	s_and_saveexec_b64 s[0:1], s[10:11]
	s_cbranch_execnz .LBB23_61
.LBB23_47:
	s_or_b64 exec, exec, s[0:1]
	s_and_saveexec_b64 s[0:1], s[12:13]
	s_cbranch_execnz .LBB23_62
.LBB23_48:
	s_or_b64 exec, exec, s[0:1]
	s_and_saveexec_b64 s[0:1], s[14:15]
	s_cbranch_execnz .LBB23_63
.LBB23_49:
	s_or_b64 exec, exec, s[0:1]
	s_and_saveexec_b64 s[0:1], s[16:17]
	s_cbranch_execnz .LBB23_64
.LBB23_50:
	s_or_b64 exec, exec, s[0:1]
	s_and_saveexec_b64 s[0:1], s[18:19]
	s_cbranch_execnz .LBB23_65
.LBB23_51:
	s_or_b64 exec, exec, s[0:1]
	s_and_saveexec_b64 s[0:1], s[20:21]
	s_cbranch_execnz .LBB23_66
.LBB23_52:
	s_or_b64 exec, exec, s[0:1]
	s_and_saveexec_b64 s[0:1], s[22:23]
	s_cbranch_execnz .LBB23_67
.LBB23_53:
	s_or_b64 exec, exec, s[0:1]
	s_and_saveexec_b64 s[0:1], s[24:25]
	s_cbranch_execnz .LBB23_68
.LBB23_54:
	s_endpgm
.LBB23_55:
	ds_read_b64 v[28:29], v31
	s_waitcnt lgkmcnt(0)
	global_store_dwordx2 v[26:27], v[28:29], off
	s_or_b64 exec, exec, s[4:5]
	s_and_saveexec_b64 s[4:5], s[0:1]
	s_cbranch_execz .LBB23_42
.LBB23_56:
	s_waitcnt lgkmcnt(6)
	global_store_dwordx2 v[26:27], v[20:21], off offset:512
	s_or_b64 exec, exec, s[4:5]
	s_and_saveexec_b64 s[0:1], s[2:3]
	s_cbranch_execz .LBB23_43
.LBB23_57:
	s_waitcnt lgkmcnt(6)
	global_store_dwordx2 v[26:27], v[22:23], off offset:1024
	s_or_b64 exec, exec, s[0:1]
	s_and_saveexec_b64 s[0:1], s[26:27]
	s_cbranch_execz .LBB23_44
.LBB23_58:
	s_waitcnt lgkmcnt(5)
	global_store_dwordx2 v[26:27], v[16:17], off offset:1536
	s_or_b64 exec, exec, s[0:1]
	s_and_saveexec_b64 s[0:1], s[6:7]
	s_cbranch_execz .LBB23_45
.LBB23_59:
	s_waitcnt lgkmcnt(5)
	global_store_dwordx2 v[26:27], v[18:19], off offset:2048
	s_or_b64 exec, exec, s[0:1]
	s_and_saveexec_b64 s[0:1], s[8:9]
	s_cbranch_execz .LBB23_46
.LBB23_60:
	s_waitcnt lgkmcnt(4)
	global_store_dwordx2 v[26:27], v[12:13], off offset:2560
	s_or_b64 exec, exec, s[0:1]
	s_and_saveexec_b64 s[0:1], s[10:11]
	s_cbranch_execz .LBB23_47
.LBB23_61:
	s_waitcnt lgkmcnt(4)
	global_store_dwordx2 v[26:27], v[14:15], off offset:3072
	s_or_b64 exec, exec, s[0:1]
	s_and_saveexec_b64 s[0:1], s[12:13]
	s_cbranch_execz .LBB23_48
.LBB23_62:
	s_waitcnt lgkmcnt(3)
	global_store_dwordx2 v[26:27], v[8:9], off offset:3584
	s_or_b64 exec, exec, s[0:1]
	s_and_saveexec_b64 s[0:1], s[14:15]
	s_cbranch_execz .LBB23_49
.LBB23_63:
	s_waitcnt lgkmcnt(3)
	v_add_co_u32_e32 v8, vcc, 0x1000, v26
	v_addc_co_u32_e32 v9, vcc, 0, v27, vcc
	global_store_dwordx2 v[8:9], v[10:11], off
	s_or_b64 exec, exec, s[0:1]
	s_and_saveexec_b64 s[0:1], s[16:17]
	s_cbranch_execz .LBB23_50
.LBB23_64:
	s_waitcnt lgkmcnt(3)
	v_add_co_u32_e32 v8, vcc, 0x1000, v26
	v_addc_co_u32_e32 v9, vcc, 0, v27, vcc
	s_waitcnt lgkmcnt(2)
	global_store_dwordx2 v[8:9], v[4:5], off offset:512
	s_or_b64 exec, exec, s[0:1]
	s_and_saveexec_b64 s[0:1], s[18:19]
	s_cbranch_execz .LBB23_51
.LBB23_65:
	s_waitcnt lgkmcnt(2)
	v_add_co_u32_e32 v4, vcc, 0x1000, v26
	v_addc_co_u32_e32 v5, vcc, 0, v27, vcc
	global_store_dwordx2 v[4:5], v[6:7], off offset:1024
	s_or_b64 exec, exec, s[0:1]
	s_and_saveexec_b64 s[0:1], s[20:21]
	s_cbranch_execz .LBB23_52
.LBB23_66:
	s_waitcnt lgkmcnt(2)
	v_add_co_u32_e32 v4, vcc, 0x1000, v26
	v_addc_co_u32_e32 v5, vcc, 0, v27, vcc
	s_waitcnt lgkmcnt(1)
	global_store_dwordx2 v[4:5], v[0:1], off offset:1536
	s_or_b64 exec, exec, s[0:1]
	s_and_saveexec_b64 s[0:1], s[22:23]
	s_cbranch_execz .LBB23_53
.LBB23_67:
	s_waitcnt lgkmcnt(1)
	v_add_co_u32_e32 v0, vcc, 0x1000, v26
	v_addc_co_u32_e32 v1, vcc, 0, v27, vcc
	global_store_dwordx2 v[0:1], v[2:3], off offset:2048
	s_or_b64 exec, exec, s[0:1]
	s_and_saveexec_b64 s[0:1], s[24:25]
	s_cbranch_execz .LBB23_54
.LBB23_68:
	s_waitcnt lgkmcnt(1)
	v_add_co_u32_e32 v0, vcc, 0x1000, v26
	v_addc_co_u32_e32 v1, vcc, 0, v27, vcc
	s_waitcnt lgkmcnt(0)
	global_store_dwordx2 v[0:1], v[24:25], off offset:2560
	s_endpgm
	.section	.rodata,"a",@progbits
	.p2align	6, 0x0
	.amdhsa_kernel _ZN7rocprim17ROCPRIM_304000_NS6detail18single_scan_kernelILb1ENS1_19wrapped_scan_configINS0_14default_configElEEN6hipcub22TransformInputIteratorIbN2at4cuda3cub12_GLOBAL__N_111CountMaskOpEPKhlEEPlNSB_5SumOpIlEEllEEvT1_mT4_T2_T3_
		.amdhsa_group_segment_fixed_size 7168
		.amdhsa_private_segment_fixed_size 0
		.amdhsa_kernarg_size 44
		.amdhsa_user_sgpr_count 6
		.amdhsa_user_sgpr_private_segment_buffer 1
		.amdhsa_user_sgpr_dispatch_ptr 0
		.amdhsa_user_sgpr_queue_ptr 0
		.amdhsa_user_sgpr_kernarg_segment_ptr 1
		.amdhsa_user_sgpr_dispatch_id 0
		.amdhsa_user_sgpr_flat_scratch_init 0
		.amdhsa_user_sgpr_private_segment_size 0
		.amdhsa_uses_dynamic_stack 0
		.amdhsa_system_sgpr_private_segment_wavefront_offset 0
		.amdhsa_system_sgpr_workgroup_id_x 1
		.amdhsa_system_sgpr_workgroup_id_y 0
		.amdhsa_system_sgpr_workgroup_id_z 0
		.amdhsa_system_sgpr_workgroup_info 0
		.amdhsa_system_vgpr_workitem_id 0
		.amdhsa_next_free_vgpr 65
		.amdhsa_next_free_sgpr 98
		.amdhsa_reserve_vcc 1
		.amdhsa_reserve_flat_scratch 0
		.amdhsa_float_round_mode_32 0
		.amdhsa_float_round_mode_16_64 0
		.amdhsa_float_denorm_mode_32 3
		.amdhsa_float_denorm_mode_16_64 3
		.amdhsa_dx10_clamp 1
		.amdhsa_ieee_mode 1
		.amdhsa_fp16_overflow 0
		.amdhsa_exception_fp_ieee_invalid_op 0
		.amdhsa_exception_fp_denorm_src 0
		.amdhsa_exception_fp_ieee_div_zero 0
		.amdhsa_exception_fp_ieee_overflow 0
		.amdhsa_exception_fp_ieee_underflow 0
		.amdhsa_exception_fp_ieee_inexact 0
		.amdhsa_exception_int_div_zero 0
	.end_amdhsa_kernel
	.section	.text._ZN7rocprim17ROCPRIM_304000_NS6detail18single_scan_kernelILb1ENS1_19wrapped_scan_configINS0_14default_configElEEN6hipcub22TransformInputIteratorIbN2at4cuda3cub12_GLOBAL__N_111CountMaskOpEPKhlEEPlNSB_5SumOpIlEEllEEvT1_mT4_T2_T3_,"axG",@progbits,_ZN7rocprim17ROCPRIM_304000_NS6detail18single_scan_kernelILb1ENS1_19wrapped_scan_configINS0_14default_configElEEN6hipcub22TransformInputIteratorIbN2at4cuda3cub12_GLOBAL__N_111CountMaskOpEPKhlEEPlNSB_5SumOpIlEEllEEvT1_mT4_T2_T3_,comdat
.Lfunc_end23:
	.size	_ZN7rocprim17ROCPRIM_304000_NS6detail18single_scan_kernelILb1ENS1_19wrapped_scan_configINS0_14default_configElEEN6hipcub22TransformInputIteratorIbN2at4cuda3cub12_GLOBAL__N_111CountMaskOpEPKhlEEPlNSB_5SumOpIlEEllEEvT1_mT4_T2_T3_, .Lfunc_end23-_ZN7rocprim17ROCPRIM_304000_NS6detail18single_scan_kernelILb1ENS1_19wrapped_scan_configINS0_14default_configElEEN6hipcub22TransformInputIteratorIbN2at4cuda3cub12_GLOBAL__N_111CountMaskOpEPKhlEEPlNSB_5SumOpIlEEllEEvT1_mT4_T2_T3_
                                        ; -- End function
	.set _ZN7rocprim17ROCPRIM_304000_NS6detail18single_scan_kernelILb1ENS1_19wrapped_scan_configINS0_14default_configElEEN6hipcub22TransformInputIteratorIbN2at4cuda3cub12_GLOBAL__N_111CountMaskOpEPKhlEEPlNSB_5SumOpIlEEllEEvT1_mT4_T2_T3_.num_vgpr, 36
	.set _ZN7rocprim17ROCPRIM_304000_NS6detail18single_scan_kernelILb1ENS1_19wrapped_scan_configINS0_14default_configElEEN6hipcub22TransformInputIteratorIbN2at4cuda3cub12_GLOBAL__N_111CountMaskOpEPKhlEEPlNSB_5SumOpIlEEllEEvT1_mT4_T2_T3_.num_agpr, 0
	.set _ZN7rocprim17ROCPRIM_304000_NS6detail18single_scan_kernelILb1ENS1_19wrapped_scan_configINS0_14default_configElEEN6hipcub22TransformInputIteratorIbN2at4cuda3cub12_GLOBAL__N_111CountMaskOpEPKhlEEPlNSB_5SumOpIlEEllEEvT1_mT4_T2_T3_.numbered_sgpr, 36
	.set _ZN7rocprim17ROCPRIM_304000_NS6detail18single_scan_kernelILb1ENS1_19wrapped_scan_configINS0_14default_configElEEN6hipcub22TransformInputIteratorIbN2at4cuda3cub12_GLOBAL__N_111CountMaskOpEPKhlEEPlNSB_5SumOpIlEEllEEvT1_mT4_T2_T3_.num_named_barrier, 0
	.set _ZN7rocprim17ROCPRIM_304000_NS6detail18single_scan_kernelILb1ENS1_19wrapped_scan_configINS0_14default_configElEEN6hipcub22TransformInputIteratorIbN2at4cuda3cub12_GLOBAL__N_111CountMaskOpEPKhlEEPlNSB_5SumOpIlEEllEEvT1_mT4_T2_T3_.private_seg_size, 0
	.set _ZN7rocprim17ROCPRIM_304000_NS6detail18single_scan_kernelILb1ENS1_19wrapped_scan_configINS0_14default_configElEEN6hipcub22TransformInputIteratorIbN2at4cuda3cub12_GLOBAL__N_111CountMaskOpEPKhlEEPlNSB_5SumOpIlEEllEEvT1_mT4_T2_T3_.uses_vcc, 1
	.set _ZN7rocprim17ROCPRIM_304000_NS6detail18single_scan_kernelILb1ENS1_19wrapped_scan_configINS0_14default_configElEEN6hipcub22TransformInputIteratorIbN2at4cuda3cub12_GLOBAL__N_111CountMaskOpEPKhlEEPlNSB_5SumOpIlEEllEEvT1_mT4_T2_T3_.uses_flat_scratch, 0
	.set _ZN7rocprim17ROCPRIM_304000_NS6detail18single_scan_kernelILb1ENS1_19wrapped_scan_configINS0_14default_configElEEN6hipcub22TransformInputIteratorIbN2at4cuda3cub12_GLOBAL__N_111CountMaskOpEPKhlEEPlNSB_5SumOpIlEEllEEvT1_mT4_T2_T3_.has_dyn_sized_stack, 0
	.set _ZN7rocprim17ROCPRIM_304000_NS6detail18single_scan_kernelILb1ENS1_19wrapped_scan_configINS0_14default_configElEEN6hipcub22TransformInputIteratorIbN2at4cuda3cub12_GLOBAL__N_111CountMaskOpEPKhlEEPlNSB_5SumOpIlEEllEEvT1_mT4_T2_T3_.has_recursion, 0
	.set _ZN7rocprim17ROCPRIM_304000_NS6detail18single_scan_kernelILb1ENS1_19wrapped_scan_configINS0_14default_configElEEN6hipcub22TransformInputIteratorIbN2at4cuda3cub12_GLOBAL__N_111CountMaskOpEPKhlEEPlNSB_5SumOpIlEEllEEvT1_mT4_T2_T3_.has_indirect_call, 0
	.section	.AMDGPU.csdata,"",@progbits
; Kernel info:
; codeLenInByte = 2924
; TotalNumSgprs: 40
; NumVgprs: 36
; ScratchSize: 0
; MemoryBound: 0
; FloatMode: 240
; IeeeMode: 1
; LDSByteSize: 7168 bytes/workgroup (compile time only)
; SGPRBlocks: 12
; VGPRBlocks: 16
; NumSGPRsForWavesPerEU: 102
; NumVGPRsForWavesPerEU: 65
; Occupancy: 3
; WaveLimiterHint : 0
; COMPUTE_PGM_RSRC2:SCRATCH_EN: 0
; COMPUTE_PGM_RSRC2:USER_SGPR: 6
; COMPUTE_PGM_RSRC2:TRAP_HANDLER: 0
; COMPUTE_PGM_RSRC2:TGID_X_EN: 1
; COMPUTE_PGM_RSRC2:TGID_Y_EN: 0
; COMPUTE_PGM_RSRC2:TGID_Z_EN: 0
; COMPUTE_PGM_RSRC2:TIDIG_COMP_CNT: 0
	.section	.AMDGPU.gpr_maximums,"",@progbits
	.set amdgpu.max_num_vgpr, 0
	.set amdgpu.max_num_agpr, 0
	.set amdgpu.max_num_sgpr, 0
	.section	.AMDGPU.csdata,"",@progbits
	.type	__hip_cuid_b7f3af9092566b21,@object ; @__hip_cuid_b7f3af9092566b21
	.section	.bss,"aw",@nobits
	.globl	__hip_cuid_b7f3af9092566b21
__hip_cuid_b7f3af9092566b21:
	.byte	0                               ; 0x0
	.size	__hip_cuid_b7f3af9092566b21, 1

	.ident	"AMD clang version 22.0.0git (https://github.com/RadeonOpenCompute/llvm-project roc-7.2.4 26084 f58b06dce1f9c15707c5f808fd002e18c2accf7e)"
	.section	".note.GNU-stack","",@progbits
	.addrsig
	.addrsig_sym __hip_cuid_b7f3af9092566b21
	.amdgpu_metadata
---
amdhsa.kernels:
  - .args:
      - .address_space:  global
        .offset:         0
        .size:           8
        .value_kind:     global_buffer
      - .offset:         8
        .size:           4
        .value_kind:     by_value
      - .offset:         12
        .size:           4
        .value_kind:     by_value
      - .address_space:  global
        .offset:         16
        .size:           8
        .value_kind:     global_buffer
      - .offset:         24
        .size:           4
        .value_kind:     hidden_block_count_x
      - .offset:         28
        .size:           4
        .value_kind:     hidden_block_count_y
      - .offset:         32
        .size:           4
        .value_kind:     hidden_block_count_z
      - .offset:         36
        .size:           2
        .value_kind:     hidden_group_size_x
      - .offset:         38
        .size:           2
        .value_kind:     hidden_group_size_y
      - .offset:         40
        .size:           2
        .value_kind:     hidden_group_size_z
      - .offset:         42
        .size:           2
        .value_kind:     hidden_remainder_x
      - .offset:         44
        .size:           2
        .value_kind:     hidden_remainder_y
      - .offset:         46
        .size:           2
        .value_kind:     hidden_remainder_z
      - .offset:         64
        .size:           8
        .value_kind:     hidden_global_offset_x
      - .offset:         72
        .size:           8
        .value_kind:     hidden_global_offset_y
      - .offset:         80
        .size:           8
        .value_kind:     hidden_global_offset_z
      - .offset:         88
        .size:           2
        .value_kind:     hidden_grid_dims
    .group_segment_fixed_size: 0
    .kernarg_segment_align: 8
    .kernarg_segment_size: 280
    .language:       OpenCL C
    .language_version:
      - 2
      - 0
    .max_flat_workgroup_size: 256
    .name:           _ZN7rocprim17ROCPRIM_304000_NS6detail31init_lookback_scan_state_kernelINS1_19lookback_scan_stateIiLb1ELb1EEEEEvT_jjPNS5_10value_typeE
    .private_segment_fixed_size: 0
    .sgpr_count:     16
    .sgpr_spill_count: 0
    .symbol:         _ZN7rocprim17ROCPRIM_304000_NS6detail31init_lookback_scan_state_kernelINS1_19lookback_scan_stateIiLb1ELb1EEEEEvT_jjPNS5_10value_typeE.kd
    .uniform_work_group_size: 1
    .uses_dynamic_stack: false
    .vgpr_count:     6
    .vgpr_spill_count: 0
    .wavefront_size: 64
  - .args:
      - .address_space:  global
        .offset:         0
        .size:           8
        .value_kind:     global_buffer
      - .offset:         8
        .size:           4
        .value_kind:     by_value
      - .offset:         12
        .size:           4
        .value_kind:     by_value
      - .address_space:  global
        .offset:         16
        .size:           8
        .value_kind:     global_buffer
      - .offset:         24
        .size:           4
        .value_kind:     hidden_block_count_x
      - .offset:         28
        .size:           4
        .value_kind:     hidden_block_count_y
      - .offset:         32
        .size:           4
        .value_kind:     hidden_block_count_z
      - .offset:         36
        .size:           2
        .value_kind:     hidden_group_size_x
      - .offset:         38
        .size:           2
        .value_kind:     hidden_group_size_y
      - .offset:         40
        .size:           2
        .value_kind:     hidden_group_size_z
      - .offset:         42
        .size:           2
        .value_kind:     hidden_remainder_x
      - .offset:         44
        .size:           2
        .value_kind:     hidden_remainder_y
      - .offset:         46
        .size:           2
        .value_kind:     hidden_remainder_z
      - .offset:         64
        .size:           8
        .value_kind:     hidden_global_offset_x
      - .offset:         72
        .size:           8
        .value_kind:     hidden_global_offset_y
      - .offset:         80
        .size:           8
        .value_kind:     hidden_global_offset_z
      - .offset:         88
        .size:           2
        .value_kind:     hidden_grid_dims
    .group_segment_fixed_size: 0
    .kernarg_segment_align: 8
    .kernarg_segment_size: 280
    .language:       OpenCL C
    .language_version:
      - 2
      - 0
    .max_flat_workgroup_size: 256
    .name:           _ZN7rocprim17ROCPRIM_304000_NS6detail31init_lookback_scan_state_kernelINS1_19lookback_scan_stateIiLb0ELb1EEEEEvT_jjPNS5_10value_typeE
    .private_segment_fixed_size: 0
    .sgpr_count:     14
    .sgpr_spill_count: 0
    .symbol:         _ZN7rocprim17ROCPRIM_304000_NS6detail31init_lookback_scan_state_kernelINS1_19lookback_scan_stateIiLb0ELb1EEEEEvT_jjPNS5_10value_typeE.kd
    .uniform_work_group_size: 1
    .uses_dynamic_stack: false
    .vgpr_count:     6
    .vgpr_spill_count: 0
    .wavefront_size: 64
  - .args:
      - .address_space:  global
        .offset:         0
        .size:           8
        .value_kind:     global_buffer
      - .address_space:  global
        .offset:         8
        .size:           8
        .value_kind:     global_buffer
      - .offset:         16
        .size:           8
        .value_kind:     by_value
      - .offset:         24
        .size:           4
        .value_kind:     by_value
      - .offset:         28
        .size:           1
        .value_kind:     by_value
      - .address_space:  global
        .offset:         32
        .size:           8
        .value_kind:     global_buffer
      - .offset:         40
        .size:           4
        .value_kind:     by_value
      - .address_space:  global
        .offset:         48
        .size:           8
        .value_kind:     global_buffer
      - .address_space:  global
        .offset:         56
        .size:           8
        .value_kind:     global_buffer
      - .offset:         64
        .size:           1
        .value_kind:     by_value
      - .offset:         65
        .size:           1
        .value_kind:     by_value
    .group_segment_fixed_size: 0
    .kernarg_segment_align: 8
    .kernarg_segment_size: 68
    .language:       OpenCL C
    .language_version:
      - 2
      - 0
    .max_flat_workgroup_size: 256
    .name:           _ZN7rocprim17ROCPRIM_304000_NS6detail20lookback_scan_kernelILNS1_25lookback_scan_determinismE0ELb0ENS1_19wrapped_scan_configINS0_14default_configEiEEPKiPiSt4plusIvEiiNS1_19lookback_scan_stateIiLb1ELb1EEEEEvT2_T3_mT5_T4_T7_jPT6_SK_bb
    .private_segment_fixed_size: 0
    .sgpr_count:     4
    .sgpr_spill_count: 0
    .symbol:         _ZN7rocprim17ROCPRIM_304000_NS6detail20lookback_scan_kernelILNS1_25lookback_scan_determinismE0ELb0ENS1_19wrapped_scan_configINS0_14default_configEiEEPKiPiSt4plusIvEiiNS1_19lookback_scan_stateIiLb1ELb1EEEEEvT2_T3_mT5_T4_T7_jPT6_SK_bb.kd
    .uniform_work_group_size: 1
    .uses_dynamic_stack: false
    .vgpr_count:     0
    .vgpr_spill_count: 0
    .wavefront_size: 64
  - .args:
      - .address_space:  global
        .offset:         0
        .size:           8
        .value_kind:     global_buffer
      - .address_space:  global
        .offset:         8
        .size:           8
        .value_kind:     global_buffer
      - .offset:         16
        .size:           8
        .value_kind:     by_value
      - .offset:         24
        .size:           4
        .value_kind:     by_value
      - .offset:         28
        .size:           1
        .value_kind:     by_value
      - .address_space:  global
        .offset:         32
        .size:           8
        .value_kind:     global_buffer
      - .offset:         40
        .size:           4
        .value_kind:     by_value
      - .address_space:  global
        .offset:         48
        .size:           8
        .value_kind:     global_buffer
      - .address_space:  global
        .offset:         56
        .size:           8
        .value_kind:     global_buffer
      - .offset:         64
        .size:           1
        .value_kind:     by_value
      - .offset:         65
        .size:           1
        .value_kind:     by_value
    .group_segment_fixed_size: 15360
    .kernarg_segment_align: 8
    .kernarg_segment_size: 68
    .language:       OpenCL C
    .language_version:
      - 2
      - 0
    .max_flat_workgroup_size: 256
    .name:           _ZN7rocprim17ROCPRIM_304000_NS6detail20lookback_scan_kernelILNS1_25lookback_scan_determinismE0ELb0ENS1_19wrapped_scan_configINS0_14default_configEiEEPKiPiSt4plusIvEiiNS1_19lookback_scan_stateIiLb0ELb1EEEEEvT2_T3_mT5_T4_T7_jPT6_SK_bb
    .private_segment_fixed_size: 0
    .sgpr_count:     38
    .sgpr_spill_count: 0
    .symbol:         _ZN7rocprim17ROCPRIM_304000_NS6detail20lookback_scan_kernelILNS1_25lookback_scan_determinismE0ELb0ENS1_19wrapped_scan_configINS0_14default_configEiEEPKiPiSt4plusIvEiiNS1_19lookback_scan_stateIiLb0ELb1EEEEEvT2_T3_mT5_T4_T7_jPT6_SK_bb.kd
    .uniform_work_group_size: 1
    .uses_dynamic_stack: false
    .vgpr_count:     44
    .vgpr_spill_count: 0
    .wavefront_size: 64
  - .args:
      - .address_space:  global
        .offset:         0
        .size:           8
        .value_kind:     global_buffer
      - .offset:         8
        .size:           8
        .value_kind:     by_value
      - .address_space:  global
        .offset:         16
        .size:           8
        .value_kind:     global_buffer
      - .offset:         24
        .size:           1
        .value_kind:     by_value
      - .offset:         32
        .size:           4
        .value_kind:     hidden_block_count_x
      - .offset:         36
        .size:           4
        .value_kind:     hidden_block_count_y
      - .offset:         40
        .size:           4
        .value_kind:     hidden_block_count_z
      - .offset:         44
        .size:           2
        .value_kind:     hidden_group_size_x
      - .offset:         46
        .size:           2
        .value_kind:     hidden_group_size_y
      - .offset:         48
        .size:           2
        .value_kind:     hidden_group_size_z
      - .offset:         50
        .size:           2
        .value_kind:     hidden_remainder_x
      - .offset:         52
        .size:           2
        .value_kind:     hidden_remainder_y
      - .offset:         54
        .size:           2
        .value_kind:     hidden_remainder_z
      - .offset:         72
        .size:           8
        .value_kind:     hidden_global_offset_x
      - .offset:         80
        .size:           8
        .value_kind:     hidden_global_offset_y
      - .offset:         88
        .size:           8
        .value_kind:     hidden_global_offset_z
      - .offset:         96
        .size:           2
        .value_kind:     hidden_grid_dims
    .group_segment_fixed_size: 0
    .kernarg_segment_align: 8
    .kernarg_segment_size: 288
    .language:       OpenCL C
    .language_version:
      - 2
      - 0
    .max_flat_workgroup_size: 1024
    .name:           _ZN7rocprim17ROCPRIM_304000_NS6detail16transform_kernelINS1_24wrapped_transform_configINS0_14default_configEiEEiPiS6_NS0_8identityIiEEEEvT1_mT2_T3_
    .private_segment_fixed_size: 0
    .sgpr_count:     16
    .sgpr_spill_count: 0
    .symbol:         _ZN7rocprim17ROCPRIM_304000_NS6detail16transform_kernelINS1_24wrapped_transform_configINS0_14default_configEiEEiPiS6_NS0_8identityIiEEEEvT1_mT2_T3_.kd
    .uniform_work_group_size: 1
    .uses_dynamic_stack: false
    .vgpr_count:     8
    .vgpr_spill_count: 0
    .wavefront_size: 64
  - .args:
      - .address_space:  global
        .offset:         0
        .size:           8
        .value_kind:     global_buffer
      - .offset:         8
        .size:           8
        .value_kind:     by_value
      - .offset:         16
        .size:           4
        .value_kind:     by_value
      - .address_space:  global
        .offset:         24
        .size:           8
        .value_kind:     global_buffer
      - .offset:         32
        .size:           1
        .value_kind:     by_value
    .group_segment_fixed_size: 15360
    .kernarg_segment_align: 8
    .kernarg_segment_size: 36
    .language:       OpenCL C
    .language_version:
      - 2
      - 0
    .max_flat_workgroup_size: 256
    .name:           _ZN7rocprim17ROCPRIM_304000_NS6detail18single_scan_kernelILb0ENS1_19wrapped_scan_configINS0_14default_configEiEEPKiPiSt4plusIvEiiEEvT1_mT4_T2_T3_
    .private_segment_fixed_size: 0
    .sgpr_count:     40
    .sgpr_spill_count: 0
    .symbol:         _ZN7rocprim17ROCPRIM_304000_NS6detail18single_scan_kernelILb0ENS1_19wrapped_scan_configINS0_14default_configEiEEPKiPiSt4plusIvEiiEEvT1_mT4_T2_T3_.kd
    .uniform_work_group_size: 1
    .uses_dynamic_stack: false
    .vgpr_count:     40
    .vgpr_spill_count: 0
    .wavefront_size: 64
  - .args:
      - .address_space:  global
        .offset:         0
        .size:           8
        .value_kind:     global_buffer
      - .offset:         8
        .size:           4
        .value_kind:     by_value
      - .offset:         12
        .size:           4
        .value_kind:     by_value
      - .address_space:  global
        .offset:         16
        .size:           8
        .value_kind:     global_buffer
      - .offset:         24
        .size:           4
        .value_kind:     hidden_block_count_x
      - .offset:         28
        .size:           4
        .value_kind:     hidden_block_count_y
      - .offset:         32
        .size:           4
        .value_kind:     hidden_block_count_z
      - .offset:         36
        .size:           2
        .value_kind:     hidden_group_size_x
      - .offset:         38
        .size:           2
        .value_kind:     hidden_group_size_y
      - .offset:         40
        .size:           2
        .value_kind:     hidden_group_size_z
      - .offset:         42
        .size:           2
        .value_kind:     hidden_remainder_x
      - .offset:         44
        .size:           2
        .value_kind:     hidden_remainder_y
      - .offset:         46
        .size:           2
        .value_kind:     hidden_remainder_z
      - .offset:         64
        .size:           8
        .value_kind:     hidden_global_offset_x
      - .offset:         72
        .size:           8
        .value_kind:     hidden_global_offset_y
      - .offset:         80
        .size:           8
        .value_kind:     hidden_global_offset_z
      - .offset:         88
        .size:           2
        .value_kind:     hidden_grid_dims
    .group_segment_fixed_size: 0
    .kernarg_segment_align: 8
    .kernarg_segment_size: 280
    .language:       OpenCL C
    .language_version:
      - 2
      - 0
    .max_flat_workgroup_size: 256
    .name:           _ZN7rocprim17ROCPRIM_304000_NS6detail31init_lookback_scan_state_kernelINS1_19lookback_scan_stateIlLb1ELb1EEEEEvT_jjPNS5_10value_typeE
    .private_segment_fixed_size: 0
    .sgpr_count:     18
    .sgpr_spill_count: 0
    .symbol:         _ZN7rocprim17ROCPRIM_304000_NS6detail31init_lookback_scan_state_kernelINS1_19lookback_scan_stateIlLb1ELb1EEEEEvT_jjPNS5_10value_typeE.kd
    .uniform_work_group_size: 1
    .uses_dynamic_stack: false
    .vgpr_count:     8
    .vgpr_spill_count: 0
    .wavefront_size: 64
  - .args:
      - .address_space:  global
        .offset:         0
        .size:           8
        .value_kind:     global_buffer
      - .offset:         8
        .size:           4
        .value_kind:     by_value
      - .offset:         12
        .size:           4
        .value_kind:     by_value
      - .address_space:  global
        .offset:         16
        .size:           8
        .value_kind:     global_buffer
      - .offset:         24
        .size:           4
        .value_kind:     hidden_block_count_x
      - .offset:         28
        .size:           4
        .value_kind:     hidden_block_count_y
      - .offset:         32
        .size:           4
        .value_kind:     hidden_block_count_z
      - .offset:         36
        .size:           2
        .value_kind:     hidden_group_size_x
      - .offset:         38
        .size:           2
        .value_kind:     hidden_group_size_y
      - .offset:         40
        .size:           2
        .value_kind:     hidden_group_size_z
      - .offset:         42
        .size:           2
        .value_kind:     hidden_remainder_x
      - .offset:         44
        .size:           2
        .value_kind:     hidden_remainder_y
      - .offset:         46
        .size:           2
        .value_kind:     hidden_remainder_z
      - .offset:         64
        .size:           8
        .value_kind:     hidden_global_offset_x
      - .offset:         72
        .size:           8
        .value_kind:     hidden_global_offset_y
      - .offset:         80
        .size:           8
        .value_kind:     hidden_global_offset_z
      - .offset:         88
        .size:           2
        .value_kind:     hidden_grid_dims
    .group_segment_fixed_size: 0
    .kernarg_segment_align: 8
    .kernarg_segment_size: 280
    .language:       OpenCL C
    .language_version:
      - 2
      - 0
    .max_flat_workgroup_size: 256
    .name:           _ZN7rocprim17ROCPRIM_304000_NS6detail31init_lookback_scan_state_kernelINS1_19lookback_scan_stateIlLb0ELb1EEEEEvT_jjPNS5_10value_typeE
    .private_segment_fixed_size: 0
    .sgpr_count:     18
    .sgpr_spill_count: 0
    .symbol:         _ZN7rocprim17ROCPRIM_304000_NS6detail31init_lookback_scan_state_kernelINS1_19lookback_scan_stateIlLb0ELb1EEEEEvT_jjPNS5_10value_typeE.kd
    .uniform_work_group_size: 1
    .uses_dynamic_stack: false
    .vgpr_count:     8
    .vgpr_spill_count: 0
    .wavefront_size: 64
  - .args:
      - .address_space:  global
        .offset:         0
        .size:           8
        .value_kind:     global_buffer
      - .address_space:  global
        .offset:         8
        .size:           8
        .value_kind:     global_buffer
      - .offset:         16
        .size:           8
        .value_kind:     by_value
      - .offset:         24
        .size:           8
        .value_kind:     by_value
      - .offset:         32
        .size:           1
        .value_kind:     by_value
      - .address_space:  global
        .offset:         40
        .size:           8
        .value_kind:     global_buffer
      - .offset:         48
        .size:           4
        .value_kind:     by_value
      - .address_space:  global
        .offset:         56
        .size:           8
        .value_kind:     global_buffer
      - .address_space:  global
        .offset:         64
        .size:           8
        .value_kind:     global_buffer
      - .offset:         72
        .size:           1
        .value_kind:     by_value
      - .offset:         73
        .size:           1
        .value_kind:     by_value
    .group_segment_fixed_size: 0
    .kernarg_segment_align: 8
    .kernarg_segment_size: 76
    .language:       OpenCL C
    .language_version:
      - 2
      - 0
    .max_flat_workgroup_size: 64
    .name:           _ZN7rocprim17ROCPRIM_304000_NS6detail20lookback_scan_kernelILNS1_25lookback_scan_determinismE0ELb0ENS1_19wrapped_scan_configINS0_14default_configElEEPKlPlSt4plusIvEllNS1_19lookback_scan_stateIlLb1ELb1EEEEEvT2_T3_mT5_T4_T7_jPT6_SK_bb
    .private_segment_fixed_size: 0
    .sgpr_count:     4
    .sgpr_spill_count: 0
    .symbol:         _ZN7rocprim17ROCPRIM_304000_NS6detail20lookback_scan_kernelILNS1_25lookback_scan_determinismE0ELb0ENS1_19wrapped_scan_configINS0_14default_configElEEPKlPlSt4plusIvEllNS1_19lookback_scan_stateIlLb1ELb1EEEEEvT2_T3_mT5_T4_T7_jPT6_SK_bb.kd
    .uniform_work_group_size: 1
    .uses_dynamic_stack: false
    .vgpr_count:     0
    .vgpr_spill_count: 0
    .wavefront_size: 64
  - .args:
      - .address_space:  global
        .offset:         0
        .size:           8
        .value_kind:     global_buffer
      - .address_space:  global
        .offset:         8
        .size:           8
        .value_kind:     global_buffer
      - .offset:         16
        .size:           8
        .value_kind:     by_value
      - .offset:         24
        .size:           8
        .value_kind:     by_value
      - .offset:         32
        .size:           1
        .value_kind:     by_value
      - .address_space:  global
        .offset:         40
        .size:           8
        .value_kind:     global_buffer
      - .offset:         48
        .size:           4
        .value_kind:     by_value
      - .address_space:  global
        .offset:         56
        .size:           8
        .value_kind:     global_buffer
      - .address_space:  global
        .offset:         64
        .size:           8
        .value_kind:     global_buffer
      - .offset:         72
        .size:           1
        .value_kind:     by_value
      - .offset:         73
        .size:           1
        .value_kind:     by_value
    .group_segment_fixed_size: 7168
    .kernarg_segment_align: 8
    .kernarg_segment_size: 76
    .language:       OpenCL C
    .language_version:
      - 2
      - 0
    .max_flat_workgroup_size: 64
    .name:           _ZN7rocprim17ROCPRIM_304000_NS6detail20lookback_scan_kernelILNS1_25lookback_scan_determinismE0ELb0ENS1_19wrapped_scan_configINS0_14default_configElEEPKlPlSt4plusIvEllNS1_19lookback_scan_stateIlLb0ELb1EEEEEvT2_T3_mT5_T4_T7_jPT6_SK_bb
    .private_segment_fixed_size: 0
    .sgpr_count:     26
    .sgpr_spill_count: 0
    .symbol:         _ZN7rocprim17ROCPRIM_304000_NS6detail20lookback_scan_kernelILNS1_25lookback_scan_determinismE0ELb0ENS1_19wrapped_scan_configINS0_14default_configElEEPKlPlSt4plusIvEllNS1_19lookback_scan_stateIlLb0ELb1EEEEEvT2_T3_mT5_T4_T7_jPT6_SK_bb.kd
    .uniform_work_group_size: 1
    .uses_dynamic_stack: false
    .vgpr_count:     62
    .vgpr_spill_count: 0
    .wavefront_size: 64
  - .args:
      - .address_space:  global
        .offset:         0
        .size:           8
        .value_kind:     global_buffer
      - .offset:         8
        .size:           8
        .value_kind:     by_value
      - .address_space:  global
        .offset:         16
        .size:           8
        .value_kind:     global_buffer
      - .offset:         24
        .size:           1
        .value_kind:     by_value
      - .offset:         32
        .size:           4
        .value_kind:     hidden_block_count_x
      - .offset:         36
        .size:           4
        .value_kind:     hidden_block_count_y
      - .offset:         40
        .size:           4
        .value_kind:     hidden_block_count_z
      - .offset:         44
        .size:           2
        .value_kind:     hidden_group_size_x
      - .offset:         46
        .size:           2
        .value_kind:     hidden_group_size_y
      - .offset:         48
        .size:           2
        .value_kind:     hidden_group_size_z
      - .offset:         50
        .size:           2
        .value_kind:     hidden_remainder_x
      - .offset:         52
        .size:           2
        .value_kind:     hidden_remainder_y
      - .offset:         54
        .size:           2
        .value_kind:     hidden_remainder_z
      - .offset:         72
        .size:           8
        .value_kind:     hidden_global_offset_x
      - .offset:         80
        .size:           8
        .value_kind:     hidden_global_offset_y
      - .offset:         88
        .size:           8
        .value_kind:     hidden_global_offset_z
      - .offset:         96
        .size:           2
        .value_kind:     hidden_grid_dims
    .group_segment_fixed_size: 0
    .kernarg_segment_align: 8
    .kernarg_segment_size: 288
    .language:       OpenCL C
    .language_version:
      - 2
      - 0
    .max_flat_workgroup_size: 512
    .name:           _ZN7rocprim17ROCPRIM_304000_NS6detail16transform_kernelINS1_24wrapped_transform_configINS0_14default_configElEElPlS6_NS0_8identityIlEEEEvT1_mT2_T3_
    .private_segment_fixed_size: 0
    .sgpr_count:     14
    .sgpr_spill_count: 0
    .symbol:         _ZN7rocprim17ROCPRIM_304000_NS6detail16transform_kernelINS1_24wrapped_transform_configINS0_14default_configElEElPlS6_NS0_8identityIlEEEEvT1_mT2_T3_.kd
    .uniform_work_group_size: 1
    .uses_dynamic_stack: false
    .vgpr_count:     3
    .vgpr_spill_count: 0
    .wavefront_size: 64
  - .args:
      - .address_space:  global
        .offset:         0
        .size:           8
        .value_kind:     global_buffer
      - .offset:         8
        .size:           8
        .value_kind:     by_value
      - .offset:         16
        .size:           8
        .value_kind:     by_value
      - .address_space:  global
        .offset:         24
        .size:           8
        .value_kind:     global_buffer
      - .offset:         32
        .size:           1
        .value_kind:     by_value
    .group_segment_fixed_size: 7168
    .kernarg_segment_align: 8
    .kernarg_segment_size: 36
    .language:       OpenCL C
    .language_version:
      - 2
      - 0
    .max_flat_workgroup_size: 64
    .name:           _ZN7rocprim17ROCPRIM_304000_NS6detail18single_scan_kernelILb0ENS1_19wrapped_scan_configINS0_14default_configElEEPKlPlSt4plusIvEllEEvT1_mT4_T2_T3_
    .private_segment_fixed_size: 0
    .sgpr_count:     40
    .sgpr_spill_count: 0
    .symbol:         _ZN7rocprim17ROCPRIM_304000_NS6detail18single_scan_kernelILb0ENS1_19wrapped_scan_configINS0_14default_configElEEPKlPlSt4plusIvEllEEvT1_mT4_T2_T3_.kd
    .uniform_work_group_size: 1
    .uses_dynamic_stack: false
    .vgpr_count:     38
    .vgpr_spill_count: 0
    .wavefront_size: 64
  - .args:
      - .address_space:  global
        .offset:         0
        .size:           8
        .value_kind:     global_buffer
      - .address_space:  global
        .offset:         8
        .size:           8
        .value_kind:     global_buffer
      - .offset:         16
        .size:           8
        .value_kind:     by_value
      - .offset:         24
        .size:           4
        .value_kind:     by_value
      - .offset:         28
        .size:           1
        .value_kind:     by_value
      - .address_space:  global
        .offset:         32
        .size:           8
        .value_kind:     global_buffer
      - .offset:         40
        .size:           4
        .value_kind:     by_value
      - .address_space:  global
        .offset:         48
        .size:           8
        .value_kind:     global_buffer
      - .address_space:  global
        .offset:         56
        .size:           8
        .value_kind:     global_buffer
      - .offset:         64
        .size:           1
        .value_kind:     by_value
      - .offset:         65
        .size:           1
        .value_kind:     by_value
    .group_segment_fixed_size: 0
    .kernarg_segment_align: 8
    .kernarg_segment_size: 68
    .language:       OpenCL C
    .language_version:
      - 2
      - 0
    .max_flat_workgroup_size: 256
    .name:           _ZN7rocprim17ROCPRIM_304000_NS6detail20lookback_scan_kernelILNS1_25lookback_scan_determinismE0ELb0ENS1_19wrapped_scan_configINS0_14default_configEiEEPKiPlSt4plusIvEiiNS1_19lookback_scan_stateIiLb1ELb1EEEEEvT2_T3_mT5_T4_T7_jPT6_SK_bb
    .private_segment_fixed_size: 0
    .sgpr_count:     4
    .sgpr_spill_count: 0
    .symbol:         _ZN7rocprim17ROCPRIM_304000_NS6detail20lookback_scan_kernelILNS1_25lookback_scan_determinismE0ELb0ENS1_19wrapped_scan_configINS0_14default_configEiEEPKiPlSt4plusIvEiiNS1_19lookback_scan_stateIiLb1ELb1EEEEEvT2_T3_mT5_T4_T7_jPT6_SK_bb.kd
    .uniform_work_group_size: 1
    .uses_dynamic_stack: false
    .vgpr_count:     0
    .vgpr_spill_count: 0
    .wavefront_size: 64
  - .args:
      - .address_space:  global
        .offset:         0
        .size:           8
        .value_kind:     global_buffer
      - .address_space:  global
        .offset:         8
        .size:           8
        .value_kind:     global_buffer
      - .offset:         16
        .size:           8
        .value_kind:     by_value
      - .offset:         24
        .size:           4
        .value_kind:     by_value
      - .offset:         28
        .size:           1
        .value_kind:     by_value
      - .address_space:  global
        .offset:         32
        .size:           8
        .value_kind:     global_buffer
      - .offset:         40
        .size:           4
        .value_kind:     by_value
      - .address_space:  global
        .offset:         48
        .size:           8
        .value_kind:     global_buffer
      - .address_space:  global
        .offset:         56
        .size:           8
        .value_kind:     global_buffer
      - .offset:         64
        .size:           1
        .value_kind:     by_value
      - .offset:         65
        .size:           1
        .value_kind:     by_value
    .group_segment_fixed_size: 15360
    .kernarg_segment_align: 8
    .kernarg_segment_size: 68
    .language:       OpenCL C
    .language_version:
      - 2
      - 0
    .max_flat_workgroup_size: 256
    .name:           _ZN7rocprim17ROCPRIM_304000_NS6detail20lookback_scan_kernelILNS1_25lookback_scan_determinismE0ELb0ENS1_19wrapped_scan_configINS0_14default_configEiEEPKiPlSt4plusIvEiiNS1_19lookback_scan_stateIiLb0ELb1EEEEEvT2_T3_mT5_T4_T7_jPT6_SK_bb
    .private_segment_fixed_size: 0
    .sgpr_count:     38
    .sgpr_spill_count: 0
    .symbol:         _ZN7rocprim17ROCPRIM_304000_NS6detail20lookback_scan_kernelILNS1_25lookback_scan_determinismE0ELb0ENS1_19wrapped_scan_configINS0_14default_configEiEEPKiPlSt4plusIvEiiNS1_19lookback_scan_stateIiLb0ELb1EEEEEvT2_T3_mT5_T4_T7_jPT6_SK_bb.kd
    .uniform_work_group_size: 1
    .uses_dynamic_stack: false
    .vgpr_count:     51
    .vgpr_spill_count: 0
    .wavefront_size: 64
  - .args:
      - .address_space:  global
        .offset:         0
        .size:           8
        .value_kind:     global_buffer
      - .offset:         8
        .size:           8
        .value_kind:     by_value
      - .offset:         16
        .size:           4
        .value_kind:     by_value
      - .address_space:  global
        .offset:         24
        .size:           8
        .value_kind:     global_buffer
      - .offset:         32
        .size:           1
        .value_kind:     by_value
    .group_segment_fixed_size: 15360
    .kernarg_segment_align: 8
    .kernarg_segment_size: 36
    .language:       OpenCL C
    .language_version:
      - 2
      - 0
    .max_flat_workgroup_size: 256
    .name:           _ZN7rocprim17ROCPRIM_304000_NS6detail18single_scan_kernelILb0ENS1_19wrapped_scan_configINS0_14default_configEiEEPKiPlSt4plusIvEiiEEvT1_mT4_T2_T3_
    .private_segment_fixed_size: 0
    .sgpr_count:     40
    .sgpr_spill_count: 0
    .symbol:         _ZN7rocprim17ROCPRIM_304000_NS6detail18single_scan_kernelILb0ENS1_19wrapped_scan_configINS0_14default_configEiEEPKiPlSt4plusIvEiiEEvT1_mT4_T2_T3_.kd
    .uniform_work_group_size: 1
    .uses_dynamic_stack: false
    .vgpr_count:     40
    .vgpr_spill_count: 0
    .wavefront_size: 64
  - .args:
      - .address_space:  global
        .offset:         0
        .size:           8
        .value_kind:     global_buffer
      - .address_space:  global
        .offset:         8
        .size:           8
        .value_kind:     global_buffer
      - .offset:         16
        .size:           8
        .value_kind:     by_value
      - .offset:         24
        .size:           4
        .value_kind:     by_value
      - .offset:         28
        .size:           1
        .value_kind:     by_value
      - .address_space:  global
        .offset:         32
        .size:           8
        .value_kind:     global_buffer
      - .offset:         40
        .size:           4
        .value_kind:     by_value
      - .address_space:  global
        .offset:         48
        .size:           8
        .value_kind:     global_buffer
      - .address_space:  global
        .offset:         56
        .size:           8
        .value_kind:     global_buffer
      - .offset:         64
        .size:           1
        .value_kind:     by_value
      - .offset:         65
        .size:           1
        .value_kind:     by_value
    .group_segment_fixed_size: 0
    .kernarg_segment_align: 8
    .kernarg_segment_size: 68
    .language:       OpenCL C
    .language_version:
      - 2
      - 0
    .max_flat_workgroup_size: 256
    .name:           _ZN7rocprim17ROCPRIM_304000_NS6detail20lookback_scan_kernelILNS1_25lookback_scan_determinismE0ELb1ENS1_19wrapped_scan_configINS0_14default_configEiEEPKiPiN2at4cuda3cub12_GLOBAL__N_15SumOpIiEEiiNS1_19lookback_scan_stateIiLb1ELb1EEEEEvT2_T3_mT5_T4_T7_jPT6_SO_bb
    .private_segment_fixed_size: 0
    .sgpr_count:     4
    .sgpr_spill_count: 0
    .symbol:         _ZN7rocprim17ROCPRIM_304000_NS6detail20lookback_scan_kernelILNS1_25lookback_scan_determinismE0ELb1ENS1_19wrapped_scan_configINS0_14default_configEiEEPKiPiN2at4cuda3cub12_GLOBAL__N_15SumOpIiEEiiNS1_19lookback_scan_stateIiLb1ELb1EEEEEvT2_T3_mT5_T4_T7_jPT6_SO_bb.kd
    .uniform_work_group_size: 1
    .uses_dynamic_stack: false
    .vgpr_count:     0
    .vgpr_spill_count: 0
    .wavefront_size: 64
  - .args:
      - .address_space:  global
        .offset:         0
        .size:           8
        .value_kind:     global_buffer
      - .address_space:  global
        .offset:         8
        .size:           8
        .value_kind:     global_buffer
      - .offset:         16
        .size:           8
        .value_kind:     by_value
      - .offset:         24
        .size:           4
        .value_kind:     by_value
      - .offset:         28
        .size:           1
        .value_kind:     by_value
      - .address_space:  global
        .offset:         32
        .size:           8
        .value_kind:     global_buffer
      - .offset:         40
        .size:           4
        .value_kind:     by_value
      - .address_space:  global
        .offset:         48
        .size:           8
        .value_kind:     global_buffer
      - .address_space:  global
        .offset:         56
        .size:           8
        .value_kind:     global_buffer
      - .offset:         64
        .size:           1
        .value_kind:     by_value
      - .offset:         65
        .size:           1
        .value_kind:     by_value
    .group_segment_fixed_size: 15360
    .kernarg_segment_align: 8
    .kernarg_segment_size: 68
    .language:       OpenCL C
    .language_version:
      - 2
      - 0
    .max_flat_workgroup_size: 256
    .name:           _ZN7rocprim17ROCPRIM_304000_NS6detail20lookback_scan_kernelILNS1_25lookback_scan_determinismE0ELb1ENS1_19wrapped_scan_configINS0_14default_configEiEEPKiPiN2at4cuda3cub12_GLOBAL__N_15SumOpIiEEiiNS1_19lookback_scan_stateIiLb0ELb1EEEEEvT2_T3_mT5_T4_T7_jPT6_SO_bb
    .private_segment_fixed_size: 0
    .sgpr_count:     38
    .sgpr_spill_count: 0
    .symbol:         _ZN7rocprim17ROCPRIM_304000_NS6detail20lookback_scan_kernelILNS1_25lookback_scan_determinismE0ELb1ENS1_19wrapped_scan_configINS0_14default_configEiEEPKiPiN2at4cuda3cub12_GLOBAL__N_15SumOpIiEEiiNS1_19lookback_scan_stateIiLb0ELb1EEEEEvT2_T3_mT5_T4_T7_jPT6_SO_bb.kd
    .uniform_work_group_size: 1
    .uses_dynamic_stack: false
    .vgpr_count:     45
    .vgpr_spill_count: 0
    .wavefront_size: 64
  - .args:
      - .address_space:  global
        .offset:         0
        .size:           8
        .value_kind:     global_buffer
      - .offset:         8
        .size:           8
        .value_kind:     by_value
      - .offset:         16
        .size:           4
        .value_kind:     by_value
      - .address_space:  global
        .offset:         24
        .size:           8
        .value_kind:     global_buffer
      - .offset:         32
        .size:           1
        .value_kind:     by_value
    .group_segment_fixed_size: 15360
    .kernarg_segment_align: 8
    .kernarg_segment_size: 36
    .language:       OpenCL C
    .language_version:
      - 2
      - 0
    .max_flat_workgroup_size: 256
    .name:           _ZN7rocprim17ROCPRIM_304000_NS6detail18single_scan_kernelILb1ENS1_19wrapped_scan_configINS0_14default_configEiEEPKiPiN2at4cuda3cub12_GLOBAL__N_15SumOpIiEEiiEEvT1_mT4_T2_T3_
    .private_segment_fixed_size: 0
    .sgpr_count:     40
    .sgpr_spill_count: 0
    .symbol:         _ZN7rocprim17ROCPRIM_304000_NS6detail18single_scan_kernelILb1ENS1_19wrapped_scan_configINS0_14default_configEiEEPKiPiN2at4cuda3cub12_GLOBAL__N_15SumOpIiEEiiEEvT1_mT4_T2_T3_.kd
    .uniform_work_group_size: 1
    .uses_dynamic_stack: false
    .vgpr_count:     26
    .vgpr_spill_count: 0
    .wavefront_size: 64
  - .args:
      - .address_space:  global
        .offset:         0
        .size:           8
        .value_kind:     global_buffer
      - .address_space:  global
        .offset:         8
        .size:           8
        .value_kind:     global_buffer
      - .offset:         16
        .size:           8
        .value_kind:     by_value
      - .offset:         24
        .size:           8
        .value_kind:     by_value
      - .offset:         32
        .size:           1
        .value_kind:     by_value
      - .address_space:  global
        .offset:         40
        .size:           8
        .value_kind:     global_buffer
      - .offset:         48
        .size:           4
        .value_kind:     by_value
      - .address_space:  global
        .offset:         56
        .size:           8
        .value_kind:     global_buffer
      - .address_space:  global
        .offset:         64
        .size:           8
        .value_kind:     global_buffer
      - .offset:         72
        .size:           1
        .value_kind:     by_value
      - .offset:         73
        .size:           1
        .value_kind:     by_value
    .group_segment_fixed_size: 0
    .kernarg_segment_align: 8
    .kernarg_segment_size: 76
    .language:       OpenCL C
    .language_version:
      - 2
      - 0
    .max_flat_workgroup_size: 64
    .name:           _ZN7rocprim17ROCPRIM_304000_NS6detail20lookback_scan_kernelILNS1_25lookback_scan_determinismE0ELb1ENS1_19wrapped_scan_configINS0_14default_configElEEPKlPlN2at4cuda3cub12_GLOBAL__N_15SumOpIlEEllNS1_19lookback_scan_stateIlLb1ELb1EEEEEvT2_T3_mT5_T4_T7_jPT6_SO_bb
    .private_segment_fixed_size: 0
    .sgpr_count:     4
    .sgpr_spill_count: 0
    .symbol:         _ZN7rocprim17ROCPRIM_304000_NS6detail20lookback_scan_kernelILNS1_25lookback_scan_determinismE0ELb1ENS1_19wrapped_scan_configINS0_14default_configElEEPKlPlN2at4cuda3cub12_GLOBAL__N_15SumOpIlEEllNS1_19lookback_scan_stateIlLb1ELb1EEEEEvT2_T3_mT5_T4_T7_jPT6_SO_bb.kd
    .uniform_work_group_size: 1
    .uses_dynamic_stack: false
    .vgpr_count:     0
    .vgpr_spill_count: 0
    .wavefront_size: 64
  - .args:
      - .address_space:  global
        .offset:         0
        .size:           8
        .value_kind:     global_buffer
      - .address_space:  global
        .offset:         8
        .size:           8
        .value_kind:     global_buffer
      - .offset:         16
        .size:           8
        .value_kind:     by_value
      - .offset:         24
        .size:           8
        .value_kind:     by_value
      - .offset:         32
        .size:           1
        .value_kind:     by_value
      - .address_space:  global
        .offset:         40
        .size:           8
        .value_kind:     global_buffer
      - .offset:         48
        .size:           4
        .value_kind:     by_value
      - .address_space:  global
        .offset:         56
        .size:           8
        .value_kind:     global_buffer
      - .address_space:  global
        .offset:         64
        .size:           8
        .value_kind:     global_buffer
      - .offset:         72
        .size:           1
        .value_kind:     by_value
      - .offset:         73
        .size:           1
        .value_kind:     by_value
    .group_segment_fixed_size: 7168
    .kernarg_segment_align: 8
    .kernarg_segment_size: 76
    .language:       OpenCL C
    .language_version:
      - 2
      - 0
    .max_flat_workgroup_size: 64
    .name:           _ZN7rocprim17ROCPRIM_304000_NS6detail20lookback_scan_kernelILNS1_25lookback_scan_determinismE0ELb1ENS1_19wrapped_scan_configINS0_14default_configElEEPKlPlN2at4cuda3cub12_GLOBAL__N_15SumOpIlEEllNS1_19lookback_scan_stateIlLb0ELb1EEEEEvT2_T3_mT5_T4_T7_jPT6_SO_bb
    .private_segment_fixed_size: 0
    .sgpr_count:     30
    .sgpr_spill_count: 0
    .symbol:         _ZN7rocprim17ROCPRIM_304000_NS6detail20lookback_scan_kernelILNS1_25lookback_scan_determinismE0ELb1ENS1_19wrapped_scan_configINS0_14default_configElEEPKlPlN2at4cuda3cub12_GLOBAL__N_15SumOpIlEEllNS1_19lookback_scan_stateIlLb0ELb1EEEEEvT2_T3_mT5_T4_T7_jPT6_SO_bb.kd
    .uniform_work_group_size: 1
    .uses_dynamic_stack: false
    .vgpr_count:     65
    .vgpr_spill_count: 0
    .wavefront_size: 64
  - .args:
      - .address_space:  global
        .offset:         0
        .size:           8
        .value_kind:     global_buffer
      - .offset:         8
        .size:           8
        .value_kind:     by_value
      - .offset:         16
        .size:           8
        .value_kind:     by_value
      - .address_space:  global
        .offset:         24
        .size:           8
        .value_kind:     global_buffer
      - .offset:         32
        .size:           1
        .value_kind:     by_value
    .group_segment_fixed_size: 7168
    .kernarg_segment_align: 8
    .kernarg_segment_size: 36
    .language:       OpenCL C
    .language_version:
      - 2
      - 0
    .max_flat_workgroup_size: 64
    .name:           _ZN7rocprim17ROCPRIM_304000_NS6detail18single_scan_kernelILb1ENS1_19wrapped_scan_configINS0_14default_configElEEPKlPlN2at4cuda3cub12_GLOBAL__N_15SumOpIlEEllEEvT1_mT4_T2_T3_
    .private_segment_fixed_size: 0
    .sgpr_count:     48
    .sgpr_spill_count: 0
    .symbol:         _ZN7rocprim17ROCPRIM_304000_NS6detail18single_scan_kernelILb1ENS1_19wrapped_scan_configINS0_14default_configElEEPKlPlN2at4cuda3cub12_GLOBAL__N_15SumOpIlEEllEEvT1_mT4_T2_T3_.kd
    .uniform_work_group_size: 1
    .uses_dynamic_stack: false
    .vgpr_count:     36
    .vgpr_spill_count: 0
    .wavefront_size: 64
  - .args:
      - .offset:         0
        .size:           16
        .value_kind:     by_value
      - .address_space:  global
        .offset:         16
        .size:           8
        .value_kind:     global_buffer
      - .offset:         24
        .size:           8
        .value_kind:     by_value
      - .offset:         32
        .size:           8
        .value_kind:     by_value
      - .offset:         40
        .size:           1
        .value_kind:     by_value
      - .address_space:  global
        .offset:         48
        .size:           8
        .value_kind:     global_buffer
      - .offset:         56
        .size:           4
        .value_kind:     by_value
      - .address_space:  global
        .offset:         64
        .size:           8
        .value_kind:     global_buffer
      - .address_space:  global
        .offset:         72
        .size:           8
        .value_kind:     global_buffer
      - .offset:         80
        .size:           1
        .value_kind:     by_value
      - .offset:         81
        .size:           1
        .value_kind:     by_value
    .group_segment_fixed_size: 0
    .kernarg_segment_align: 8
    .kernarg_segment_size: 84
    .language:       OpenCL C
    .language_version:
      - 2
      - 0
    .max_flat_workgroup_size: 64
    .name:           _ZN7rocprim17ROCPRIM_304000_NS6detail20lookback_scan_kernelILNS1_25lookback_scan_determinismE0ELb1ENS1_19wrapped_scan_configINS0_14default_configElEEN6hipcub22TransformInputIteratorIbN2at4cuda3cub12_GLOBAL__N_111CountMaskOpEPKhlEEPlNSC_5SumOpIlEEllNS1_19lookback_scan_stateIlLb1ELb1EEEEEvT2_T3_mT5_T4_T7_jPT6_SS_bb
    .private_segment_fixed_size: 0
    .sgpr_count:     4
    .sgpr_spill_count: 0
    .symbol:         _ZN7rocprim17ROCPRIM_304000_NS6detail20lookback_scan_kernelILNS1_25lookback_scan_determinismE0ELb1ENS1_19wrapped_scan_configINS0_14default_configElEEN6hipcub22TransformInputIteratorIbN2at4cuda3cub12_GLOBAL__N_111CountMaskOpEPKhlEEPlNSC_5SumOpIlEEllNS1_19lookback_scan_stateIlLb1ELb1EEEEEvT2_T3_mT5_T4_T7_jPT6_SS_bb.kd
    .uniform_work_group_size: 1
    .uses_dynamic_stack: false
    .vgpr_count:     0
    .vgpr_spill_count: 0
    .wavefront_size: 64
  - .args:
      - .offset:         0
        .size:           16
        .value_kind:     by_value
      - .address_space:  global
        .offset:         16
        .size:           8
        .value_kind:     global_buffer
      - .offset:         24
        .size:           8
        .value_kind:     by_value
      - .offset:         32
        .size:           8
        .value_kind:     by_value
      - .offset:         40
        .size:           1
        .value_kind:     by_value
      - .address_space:  global
        .offset:         48
        .size:           8
        .value_kind:     global_buffer
      - .offset:         56
        .size:           4
        .value_kind:     by_value
      - .address_space:  global
        .offset:         64
        .size:           8
        .value_kind:     global_buffer
      - .address_space:  global
        .offset:         72
        .size:           8
        .value_kind:     global_buffer
      - .offset:         80
        .size:           1
        .value_kind:     by_value
      - .offset:         81
        .size:           1
        .value_kind:     by_value
    .group_segment_fixed_size: 7168
    .kernarg_segment_align: 8
    .kernarg_segment_size: 84
    .language:       OpenCL C
    .language_version:
      - 2
      - 0
    .max_flat_workgroup_size: 64
    .name:           _ZN7rocprim17ROCPRIM_304000_NS6detail20lookback_scan_kernelILNS1_25lookback_scan_determinismE0ELb1ENS1_19wrapped_scan_configINS0_14default_configElEEN6hipcub22TransformInputIteratorIbN2at4cuda3cub12_GLOBAL__N_111CountMaskOpEPKhlEEPlNSC_5SumOpIlEEllNS1_19lookback_scan_stateIlLb0ELb1EEEEEvT2_T3_mT5_T4_T7_jPT6_SS_bb
    .private_segment_fixed_size: 0
    .sgpr_count:     30
    .sgpr_spill_count: 0
    .symbol:         _ZN7rocprim17ROCPRIM_304000_NS6detail20lookback_scan_kernelILNS1_25lookback_scan_determinismE0ELb1ENS1_19wrapped_scan_configINS0_14default_configElEEN6hipcub22TransformInputIteratorIbN2at4cuda3cub12_GLOBAL__N_111CountMaskOpEPKhlEEPlNSC_5SumOpIlEEllNS1_19lookback_scan_stateIlLb0ELb1EEEEEvT2_T3_mT5_T4_T7_jPT6_SS_bb.kd
    .uniform_work_group_size: 1
    .uses_dynamic_stack: false
    .vgpr_count:     65
    .vgpr_spill_count: 0
    .wavefront_size: 64
  - .args:
      - .offset:         0
        .size:           16
        .value_kind:     by_value
      - .offset:         16
        .size:           8
        .value_kind:     by_value
      - .offset:         24
        .size:           8
        .value_kind:     by_value
      - .address_space:  global
        .offset:         32
        .size:           8
        .value_kind:     global_buffer
      - .offset:         40
        .size:           1
        .value_kind:     by_value
    .group_segment_fixed_size: 7168
    .kernarg_segment_align: 8
    .kernarg_segment_size: 44
    .language:       OpenCL C
    .language_version:
      - 2
      - 0
    .max_flat_workgroup_size: 64
    .name:           _ZN7rocprim17ROCPRIM_304000_NS6detail18single_scan_kernelILb1ENS1_19wrapped_scan_configINS0_14default_configElEEN6hipcub22TransformInputIteratorIbN2at4cuda3cub12_GLOBAL__N_111CountMaskOpEPKhlEEPlNSB_5SumOpIlEEllEEvT1_mT4_T2_T3_
    .private_segment_fixed_size: 0
    .sgpr_count:     40
    .sgpr_spill_count: 0
    .symbol:         _ZN7rocprim17ROCPRIM_304000_NS6detail18single_scan_kernelILb1ENS1_19wrapped_scan_configINS0_14default_configElEEN6hipcub22TransformInputIteratorIbN2at4cuda3cub12_GLOBAL__N_111CountMaskOpEPKhlEEPlNSB_5SumOpIlEEllEEvT1_mT4_T2_T3_.kd
    .uniform_work_group_size: 1
    .uses_dynamic_stack: false
    .vgpr_count:     36
    .vgpr_spill_count: 0
    .wavefront_size: 64
amdhsa.target:   amdgcn-amd-amdhsa--gfx906
amdhsa.version:
  - 1
  - 2
...

	.end_amdgpu_metadata
